;; amdgpu-corpus repo=ROCm/rocFFT kind=compiled arch=gfx1201 opt=O3
	.text
	.amdgcn_target "amdgcn-amd-amdhsa--gfx1201"
	.amdhsa_code_object_version 6
	.protected	bluestein_single_fwd_len2401_dim1_half_op_CI_CI ; -- Begin function bluestein_single_fwd_len2401_dim1_half_op_CI_CI
	.globl	bluestein_single_fwd_len2401_dim1_half_op_CI_CI
	.p2align	8
	.type	bluestein_single_fwd_len2401_dim1_half_op_CI_CI,@function
bluestein_single_fwd_len2401_dim1_half_op_CI_CI: ; @bluestein_single_fwd_len2401_dim1_half_op_CI_CI
; %bb.0:
	s_load_b128 s[12:15], s[0:1], 0x28
	v_mul_u32_u24_e32 v1, 0x53a, v0
	s_mov_b32 s2, exec_lo
	v_mov_b32_e32 v3, 0
	s_delay_alu instid0(VALU_DEP_2) | instskip(NEXT) | instid1(VALU_DEP_1)
	v_lshrrev_b32_e32 v1, 16, v1
	v_add_nc_u32_e32 v2, ttmp9, v1
	s_wait_kmcnt 0x0
	s_delay_alu instid0(VALU_DEP_1)
	v_cmpx_gt_u64_e64 s[12:13], v[2:3]
	s_cbranch_execz .LBB0_2
; %bb.1:
	s_clause 0x1
	s_load_b128 s[8:11], s[0:1], 0x18
	s_load_b128 s[4:7], s[0:1], 0x0
	v_mul_lo_u16 v1, v1, 49
	v_mov_b32_e32 v4, v2
	s_movk_i32 s12, 0xe09c
	s_mov_b32 s13, -1
	s_load_b64 s[0:1], s[0:1], 0x38
	v_sub_nc_u16 v38, v0, v1
	scratch_store_b64 off, v[4:5], off offset:352 ; 8-byte Folded Spill
	v_and_b32_e32 v176, 0xffff, v38
	s_wait_kmcnt 0x0
	s_load_b128 s[16:19], s[8:9], 0x0
	s_wait_kmcnt 0x0
	v_mad_co_u64_u32 v[0:1], null, s18, v2, 0
	v_mad_co_u64_u32 v[2:3], null, s16, v176, 0
	s_mul_u64 s[2:3], s[16:17], 0x55c
	s_mul_u64 s[8:9], s[16:17], s[12:13]
	s_delay_alu instid0(VALU_DEP_1) | instskip(NEXT) | instid1(VALU_DEP_1)
	v_mad_co_u64_u32 v[4:5], null, s19, v4, v[1:2]
	v_dual_mov_b32 v1, v4 :: v_dual_lshlrev_b32 v152, 2, v176
	s_delay_alu instid0(VALU_DEP_3)
	v_mad_co_u64_u32 v[5:6], null, s17, v176, v[3:4]
	v_add_co_u32 v78, null, v176, 49
	s_clause 0x3
	global_load_b32 v57, v152, s[4:5]
	global_load_b32 v28, v152, s[4:5] offset:1372
	global_load_b32 v55, v152, s[4:5] offset:2744
	;; [unrolled: 1-line block ×3, first 2 shown]
	v_lshlrev_b64_e32 v[0:1], 2, v[0:1]
	v_mov_b32_e32 v3, v5
	s_delay_alu instid0(VALU_DEP_2) | instskip(NEXT) | instid1(VALU_DEP_2)
	v_add_co_u32 v0, vcc_lo, s14, v0
	v_lshlrev_b64_e32 v[2:3], 2, v[2:3]
	s_delay_alu instid0(VALU_DEP_4) | instskip(NEXT) | instid1(VALU_DEP_2)
	v_add_co_ci_u32_e32 v1, vcc_lo, s15, v1, vcc_lo
	v_add_co_u32 v0, vcc_lo, v0, v2
	s_wait_alu 0xfffd
	s_delay_alu instid0(VALU_DEP_2) | instskip(SKIP_4) | instid1(VALU_DEP_2)
	v_add_co_ci_u32_e32 v1, vcc_lo, v1, v3, vcc_lo
	global_load_b32 v6, v[0:1], off
	v_add_co_u32 v0, vcc_lo, v0, s2
	s_wait_alu 0xfffd
	v_add_co_ci_u32_e32 v1, vcc_lo, s3, v1, vcc_lo
	v_add_co_u32 v2, vcc_lo, v0, s2
	s_wait_alu 0xfffd
	s_delay_alu instid0(VALU_DEP_2)
	v_add_co_ci_u32_e32 v3, vcc_lo, s3, v1, vcc_lo
	s_wait_loadcnt 0x3
	v_mov_b32_e32 v29, v28
	global_load_b32 v43, v152, s[4:5] offset:5488
	global_load_b32 v7, v[0:1], off
	global_load_b32 v44, v152, s[4:5] offset:6860
	v_add_co_u32 v0, vcc_lo, v2, s2
	s_wait_alu 0xfffd
	v_add_co_ci_u32_e32 v1, vcc_lo, s3, v3, vcc_lo
	global_load_b32 v9, v[2:3], off
	v_add_co_u32 v2, vcc_lo, v0, s2
	s_wait_alu 0xfffd
	v_add_co_ci_u32_e32 v3, vcc_lo, s3, v1, vcc_lo
	s_clause 0x1
	global_load_b32 v8, v[0:1], off
	global_load_b32 v5, v[2:3], off
	v_add_co_u32 v0, vcc_lo, v2, s2
	s_wait_alu 0xfffd
	v_add_co_ci_u32_e32 v1, vcc_lo, s3, v3, vcc_lo
	v_lshrrev_b32_e32 v56, 16, v57
	v_lshrrev_b32_e32 v61, 16, v29
	s_wait_loadcnt 0x8
	v_lshrrev_b32_e32 v60, 16, v55
	global_load_b32 v2, v[0:1], off
	v_add_co_u32 v0, vcc_lo, v0, s2
	s_wait_alu 0xfffd
	v_add_co_ci_u32_e32 v1, vcc_lo, s3, v1, vcc_lo
	global_load_b32 v41, v152, s[4:5] offset:8232
	global_load_b32 v4, v[0:1], off
	v_add_co_u32 v0, vcc_lo, v0, s8
	s_wait_alu 0xfffd
	v_add_co_ci_u32_e32 v1, vcc_lo, s9, v1, vcc_lo
	global_load_b32 v53, v152, s[4:5] offset:196
	global_load_b32 v3, v[0:1], off
	s_clause 0x5
	global_load_b32 v54, v152, s[4:5] offset:2940
	global_load_b32 v50, v152, s[4:5] offset:4312
	;; [unrolled: 1-line block ×6, first 2 shown]
	v_add_co_u32 v0, vcc_lo, v0, s2
	s_wait_alu 0xfffd
	v_add_co_ci_u32_e32 v1, vcc_lo, s3, v1, vcc_lo
	s_clause 0x3
	global_load_b32 v49, v152, s[4:5] offset:7056
	global_load_b32 v46, v152, s[4:5] offset:7252
	;; [unrolled: 1-line block ×4, first 2 shown]
	v_add_co_u32 v10, vcc_lo, v0, s2
	s_wait_alu 0xfffd
	v_add_co_ci_u32_e32 v11, vcc_lo, s3, v1, vcc_lo
	s_clause 0x3
	global_load_b32 v48, v152, s[4:5] offset:392
	global_load_b32 v45, v152, s[4:5] offset:588
	;; [unrolled: 1-line block ×4, first 2 shown]
	v_add_co_u32 v12, vcc_lo, v10, s2
	s_wait_alu 0xfffd
	v_add_co_ci_u32_e32 v13, vcc_lo, s3, v11, vcc_lo
	global_load_b32 v24, v[0:1], off
	v_add_co_u32 v14, vcc_lo, v12, s2
	s_wait_alu 0xfffd
	v_add_co_ci_u32_e32 v15, vcc_lo, s3, v13, vcc_lo
	s_wait_loadcnt 0x1a
	v_mul_f16_e32 v25, v56, v6
	v_add_co_u32 v16, vcc_lo, v14, s2
	s_wait_alu 0xfffd
	v_add_co_ci_u32_e32 v17, vcc_lo, s3, v15, vcc_lo
	v_lshrrev_b32_e32 v59, 16, v52
	s_delay_alu instid0(VALU_DEP_3) | instskip(SKIP_1) | instid1(VALU_DEP_3)
	v_add_co_u32 v18, vcc_lo, v16, s2
	s_wait_alu 0xfffd
	v_add_co_ci_u32_e32 v19, vcc_lo, s3, v17, vcc_lo
	s_clause 0x1
	scratch_store_b32 off, v52, off offset:372
	scratch_store_b32 off, v60, off offset:376
	v_add_co_u32 v20, vcc_lo, v18, s8
	s_wait_alu 0xfffd
	v_add_co_ci_u32_e32 v21, vcc_lo, s9, v19, vcc_lo
	s_clause 0x4
	scratch_store_b32 off, v57, off offset:396
	scratch_store_b32 off, v56, off offset:392
	;; [unrolled: 1-line block ×5, first 2 shown]
	v_add_co_u32 v22, vcc_lo, v20, s2
	s_wait_alu 0xfffd
	v_add_co_ci_u32_e32 v23, vcc_lo, s3, v21, vcc_lo
	scratch_store_b32 off, v59, off offset:368 ; 4-byte Folded Spill
	v_add_co_u32 v0, vcc_lo, v22, s2
	s_wait_alu 0xfffd
	v_add_co_ci_u32_e32 v1, vcc_lo, s3, v23, vcc_lo
	global_load_b32 v22, v[22:23], off
	v_lshrrev_b32_e32 v23, 16, v6
	s_clause 0x3
	global_load_b32 v33, v152, s[4:5] offset:2548
	global_load_b32 v32, v152, s[4:5] offset:3920
	;; [unrolled: 1-line block ×4, first 2 shown]
	v_mul_f16_e32 v26, v56, v23
	v_fma_f16 v23, v57, v23, -v25
	global_load_b32 v34, v152, s[4:5] offset:1176
	v_add_nc_u32_e32 v252, 0x400, v152
	v_add_nc_u32_e32 v208, 0x1000, v152
	v_fmac_f16_e32 v26, v57, v6
	v_add_nc_u32_e32 v246, 0x1a00, v152
	v_add_nc_u32_e32 v187, 0x2000, v152
	;; [unrolled: 1-line block ×4, first 2 shown]
	v_pack_b32_f16 v23, v26, v23
	v_add_nc_u32_e32 v169, 0x1c00, v152
	v_add_nc_u32_e32 v181, 0x800, v152
	;; [unrolled: 1-line block ×4, first 2 shown]
	s_wait_loadcnt 0x1e
	v_lshrrev_b32_e32 v27, 16, v7
	v_mul_f16_e32 v28, v61, v7
	v_lshrrev_b32_e32 v58, 16, v43
	s_wait_loadcnt 0x1d
	v_lshrrev_b32_e32 v56, 16, v44
	scratch_store_b32 off, v43, off offset:364 ; 4-byte Folded Spill
	v_mul_f16_e32 v6, v61, v27
	s_wait_loadcnt 0x1c
	v_lshrrev_b32_e32 v25, 16, v9
	scratch_store_b32 off, v58, off offset:360 ; 4-byte Folded Spill
	v_fma_f16 v27, v29, v27, -v28
	v_mul_f16_e32 v28, v60, v9
	v_fmac_f16_e32 v6, v29, v7
	v_mul_f16_e32 v7, v60, v25
	s_wait_loadcnt 0x1b
	v_lshrrev_b32_e32 v26, 16, v8
	v_mul_f16_e32 v29, v59, v8
	v_fma_f16 v25, v55, v25, -v28
	v_pack_b32_f16 v6, v6, v27
	v_fmac_f16_e32 v7, v55, v9
	v_mul_f16_e32 v9, v59, v26
	s_wait_loadcnt 0x1a
	v_lshrrev_b32_e32 v27, 16, v5
	v_fma_f16 v26, v52, v26, -v29
	v_mul_f16_e32 v28, v58, v5
	ds_store_b32 v152, v6 offset:1372
	v_pack_b32_f16 v6, v7, v25
	v_fmac_f16_e32 v9, v52, v8
	v_mul_f16_e32 v7, v58, v27
	v_fma_f16 v8, v43, v27, -v28
	s_wait_loadcnt 0x19
	v_lshrrev_b32_e32 v25, 16, v2
	ds_store_b32 v152, v6 offset:2744
	v_pack_b32_f16 v6, v9, v26
	v_fmac_f16_e32 v7, v43, v5
	scratch_store_b32 off, v56, off offset:340 ; 4-byte Folded Spill
	s_clause 0x4
	global_load_b32 v52, v152, s[4:5] offset:8428
	global_load_b32 v43, v152, s[4:5] offset:8624
	;; [unrolled: 1-line block ×5, first 2 shown]
	v_mul_f16_e32 v9, v56, v25
	ds_store_b32 v152, v6 offset:4116
	v_pack_b32_f16 v6, v7, v8
	s_wait_loadcnt 0x1d
	v_lshrrev_b32_e32 v7, 16, v41
	v_mul_f16_e32 v27, v56, v2
	v_fmac_f16_e32 v9, v44, v2
	s_wait_loadcnt 0x1c
	v_lshrrev_b32_e32 v2, 16, v4
	ds_store_b32 v152, v6 offset:5488
	v_mul_f16_e32 v6, v7, v4
	v_fma_f16 v5, v44, v25, -v27
	scratch_store_b32 off, v7, off offset:332 ; 4-byte Folded Spill
	s_wait_loadcnt 0x1b
	scratch_store_b32 off, v53, off offset:336 ; 4-byte Folded Spill
	global_load_b32 v25, v152, s[4:5] offset:8036
	v_fma_f16 v6, v41, v2, -v6
	v_mul_f16_e32 v2, v7, v2
	v_lshrrev_b32_e32 v7, 16, v53
	s_clause 0x1
	scratch_store_b32 off, v44, off offset:348
	scratch_store_b32 off, v41, off offset:328
	v_fmac_f16_e32 v2, v41, v4
	v_pack_b32_f16 v4, v9, v5
	s_wait_loadcnt 0x1b
	v_lshrrev_b32_e32 v5, 16, v3
	scratch_store_b32 off, v7, off offset:344 ; 4-byte Folded Spill
	v_pack_b32_f16 v2, v2, v6
	v_mul_f16_e32 v6, v7, v3
	s_delay_alu instid0(VALU_DEP_1) | instskip(SKIP_3) | instid1(VALU_DEP_1)
	v_fma_f16 v6, v53, v5, -v6
	v_mul_f16_e32 v5, v7, v5
	global_load_b32 v7, v152, s[4:5] offset:1568
	v_fmac_f16_e32 v5, v53, v3
	v_pack_b32_f16 v3, v5, v6
	global_load_b32 v6, v152, s[4:5] offset:1764
	s_wait_loadcnt 0x0
	scratch_store_b32 off, v6, off offset:272 ; 4-byte Folded Spill
	ds_store_b32 v152, v4 offset:6860
	ds_store_b32 v152, v2 offset:8232
	ds_store_2addr_b32 v152, v23, v3 offset1:49
	v_lshrrev_b32_e32 v4, 16, v7
	v_lshrrev_b32_e32 v2, 16, v24
	s_clause 0x2
	global_load_b32 v41, v152, s[4:5] offset:1960
	global_load_b32 v27, v152, s[4:5] offset:2156
	;; [unrolled: 1-line block ×3, first 2 shown]
	s_clause 0x1
	scratch_store_b32 off, v7, off offset:312
	scratch_store_b32 off, v4, off offset:316
	v_mul_f16_e32 v3, v4, v24
	s_delay_alu instid0(VALU_DEP_1) | instskip(SKIP_2) | instid1(VALU_DEP_2)
	v_fma_f16 v3, v7, v2, -v3
	v_mul_f16_e32 v2, v4, v2
	v_lshrrev_b32_e32 v4, 16, v22
	v_fmac_f16_e32 v2, v7, v24
	v_lshrrev_b32_e32 v7, 16, v6
	s_delay_alu instid0(VALU_DEP_2) | instskip(NEXT) | instid1(VALU_DEP_2)
	v_pack_b32_f16 v2, v2, v3
	v_mul_f16_e32 v5, v7, v22
	scratch_store_b32 off, v7, off offset:276 ; 4-byte Folded Spill
	v_fma_f16 v5, v6, v4, -v5
	v_mul_f16_e32 v4, v7, v4
	global_load_b32 v7, v152, s[4:5] offset:3136
	v_fmac_f16_e32 v4, v6, v22
	v_lshrrev_b32_e32 v6, 16, v54
	scratch_store_b32 off, v54, off offset:320 ; 4-byte Folded Spill
	v_pack_b32_f16 v3, v4, v5
	scratch_store_b32 off, v6, off offset:324 ; 4-byte Folded Spill
	global_load_b32 v4, v[10:11], off
	ds_store_2addr_b32 v252, v2, v3 offset0:136 offset1:185
	v_add_co_u32 v2, vcc_lo, v0, s2
	global_load_b32 v0, v[0:1], off
	s_wait_alu 0xfffd
	v_add_co_ci_u32_e32 v3, vcc_lo, s3, v1, vcc_lo
	s_wait_loadcnt 0x2
	v_lshrrev_b32_e32 v8, 16, v7
	scratch_store_b32 off, v7, off offset:248 ; 4-byte Folded Spill
	s_clause 0x2
	global_load_b32 v44, v152, s[4:5] offset:3332
	global_load_b32 v24, v152, s[4:5] offset:3528
	;; [unrolled: 1-line block ×3, first 2 shown]
	s_clause 0x2
	scratch_store_b32 off, v48, off offset:264
	scratch_store_b32 off, v27, off offset:160
	;; [unrolled: 1-line block ×3, first 2 shown]
	s_wait_loadcnt 0x4
	v_lshrrev_b32_e32 v1, 16, v4
	v_mul_f16_e32 v5, v6, v4
	s_delay_alu instid0(VALU_DEP_1) | instskip(SKIP_3) | instid1(VALU_DEP_2)
	v_fma_f16 v5, v54, v1, -v5
	v_mul_f16_e32 v1, v6, v1
	s_wait_loadcnt 0x3
	v_mul_f16_e32 v6, v8, v0
	v_fmac_f16_e32 v1, v54, v4
	v_lshrrev_b32_e32 v4, 16, v0
	s_delay_alu instid0(VALU_DEP_1) | instskip(SKIP_1) | instid1(VALU_DEP_1)
	v_fma_f16 v6, v7, v4, -v6
	v_mul_f16_e32 v4, v8, v4
	v_fmac_f16_e32 v4, v7, v0
	v_pack_b32_f16 v0, v1, v5
	v_lshrrev_b32_e32 v7, 16, v47
	scratch_store_b32 off, v47, off offset:256 ; 4-byte Folded Spill
	v_pack_b32_f16 v1, v4, v6
	v_add_nc_u32_e32 v4, 0xa00, v152
	v_lshrrev_b32_e32 v6, 16, v50
	scratch_store_b32 off, v7, off offset:260 ; 4-byte Folded Spill
	ds_store_2addr_b32 v4, v0, v1 offset0:95 offset1:144
	v_mov_b32_e32 v170, v4
	global_load_b32 v4, v[12:13], off
	v_add_co_u32 v0, vcc_lo, v2, s2
	global_load_b32 v2, v[2:3], off
	s_wait_alu 0xfffd
	v_add_co_ci_u32_e32 v1, vcc_lo, s3, v3, vcc_lo
	scratch_store_b32 off, v6, off offset:300 ; 4-byte Folded Spill
	s_wait_loadcnt 0x1
	v_lshrrev_b32_e32 v3, 16, v4
	v_mul_f16_e32 v5, v6, v4
	s_delay_alu instid0(VALU_DEP_1) | instskip(SKIP_3) | instid1(VALU_DEP_2)
	v_fma_f16 v5, v50, v3, -v5
	v_mul_f16_e32 v3, v6, v3
	s_wait_loadcnt 0x0
	v_mul_f16_e32 v6, v7, v2
	v_fmac_f16_e32 v3, v50, v4
	v_lshrrev_b32_e32 v4, 16, v2
	s_delay_alu instid0(VALU_DEP_1) | instskip(SKIP_2) | instid1(VALU_DEP_2)
	v_fma_f16 v6, v47, v4, -v6
	v_mul_f16_e32 v4, v7, v4
	v_lshrrev_b32_e32 v7, 16, v42
	v_fmac_f16_e32 v4, v47, v2
	v_pack_b32_f16 v2, v3, v5
	scratch_store_b32 off, v7, off offset:236 ; 4-byte Folded Spill
	v_pack_b32_f16 v3, v4, v6
	global_load_b32 v4, v[14:15], off
	v_lshrrev_b32_e32 v6, 16, v51
	scratch_store_b32 off, v51, off offset:304 ; 4-byte Folded Spill
	ds_store_2addr_b32 v208, v2, v3 offset0:54 offset1:103
	v_add_co_u32 v2, vcc_lo, v0, s2
	scratch_store_b32 off, v6, off offset:308 ; 4-byte Folded Spill
	global_load_b32 v0, v[0:1], off
	s_wait_alu 0xfffd
	v_add_co_ci_u32_e32 v3, vcc_lo, s3, v1, vcc_lo
	s_wait_loadcnt 0x1
	v_lshrrev_b32_e32 v1, 16, v4
	v_mul_f16_e32 v5, v6, v4
	s_delay_alu instid0(VALU_DEP_1) | instskip(SKIP_3) | instid1(VALU_DEP_2)
	v_fma_f16 v5, v51, v1, -v5
	v_mul_f16_e32 v1, v6, v1
	s_wait_loadcnt 0x0
	v_mul_f16_e32 v6, v7, v0
	v_fmac_f16_e32 v1, v51, v4
	v_lshrrev_b32_e32 v4, 16, v0
	s_delay_alu instid0(VALU_DEP_1)
	v_fma_f16 v6, v42, v4, -v6
	v_mul_f16_e32 v4, v7, v4
	v_lshrrev_b32_e32 v7, 16, v46
	scratch_store_b32 off, v46, off offset:240 ; 4-byte Folded Spill
	v_fmac_f16_e32 v4, v42, v0
	scratch_store_b32 off, v7, off offset:244 ; 4-byte Folded Spill
	v_pack_b32_f16 v0, v1, v5
	v_pack_b32_f16 v1, v4, v6
	global_load_b32 v4, v[16:17], off
	v_lshrrev_b32_e32 v6, 16, v49
	scratch_store_b32 off, v49, off offset:280 ; 4-byte Folded Spill
	ds_store_2addr_b32 v223, v0, v1 offset0:141 offset1:190
	v_add_co_u32 v0, vcc_lo, v2, s2
	scratch_store_b32 off, v6, off offset:284 ; 4-byte Folded Spill
	global_load_b32 v2, v[2:3], off
	s_wait_alu 0xfffd
	v_add_co_ci_u32_e32 v1, vcc_lo, s3, v3, vcc_lo
	s_wait_loadcnt 0x1
	v_lshrrev_b32_e32 v3, 16, v4
	v_mul_f16_e32 v5, v6, v4
	s_delay_alu instid0(VALU_DEP_1) | instskip(SKIP_3) | instid1(VALU_DEP_2)
	v_fma_f16 v5, v49, v3, -v5
	v_mul_f16_e32 v3, v6, v3
	s_wait_loadcnt 0x0
	v_mul_f16_e32 v6, v7, v2
	v_fmac_f16_e32 v3, v49, v4
	v_lshrrev_b32_e32 v4, 16, v2
	s_delay_alu instid0(VALU_DEP_1) | instskip(SKIP_2) | instid1(VALU_DEP_2)
	v_fma_f16 v6, v46, v4, -v6
	v_mul_f16_e32 v4, v7, v4
	v_lshrrev_b32_e32 v7, 16, v43
	v_fmac_f16_e32 v4, v46, v2
	v_pack_b32_f16 v2, v3, v5
	scratch_store_b32 off, v7, off offset:220 ; 4-byte Folded Spill
	v_pack_b32_f16 v3, v4, v6
	global_load_b32 v4, v[18:19], off
	v_lshrrev_b32_e32 v6, 16, v52
	s_clause 0x1
	scratch_store_b32 off, v52, off offset:288
	scratch_store_b32 off, v50, off offset:296
	ds_store_2addr_b32 v246, v2, v3 offset0:100 offset1:149
	v_add_co_u32 v2, vcc_lo, v0, s8
	scratch_store_b32 off, v6, off offset:292 ; 4-byte Folded Spill
	global_load_b32 v0, v[0:1], off
	s_wait_alu 0xfffd
	v_add_co_ci_u32_e32 v3, vcc_lo, s9, v1, vcc_lo
	v_lshrrev_b32_e32 v18, 16, v41
	v_lshrrev_b32_e32 v19, 16, v27
	s_clause 0x2
	scratch_store_b32 off, v41, off offset:200
	scratch_store_b32 off, v18, off offset:204
	;; [unrolled: 1-line block ×3, first 2 shown]
	s_wait_loadcnt 0x1
	v_lshrrev_b32_e32 v1, 16, v4
	v_mul_f16_e32 v5, v6, v4
	s_delay_alu instid0(VALU_DEP_1) | instskip(SKIP_3) | instid1(VALU_DEP_2)
	v_fma_f16 v5, v52, v1, -v5
	v_mul_f16_e32 v1, v6, v1
	s_wait_loadcnt 0x0
	v_mul_f16_e32 v6, v7, v0
	v_fmac_f16_e32 v1, v52, v4
	v_lshrrev_b32_e32 v4, 16, v0
	s_delay_alu instid0(VALU_DEP_1)
	v_fma_f16 v6, v43, v4, -v6
	v_mul_f16_e32 v4, v7, v4
	v_lshrrev_b32_e32 v7, 16, v45
	s_clause 0x1
	scratch_store_b32 off, v45, off offset:224
	scratch_store_b32 off, v42, off offset:232
	v_fmac_f16_e32 v4, v43, v0
	scratch_store_b32 off, v7, off offset:228 ; 4-byte Folded Spill
	v_pack_b32_f16 v0, v1, v5
	v_pack_b32_f16 v1, v4, v6
	global_load_b32 v4, v[20:21], off
	v_lshrrev_b32_e32 v6, 16, v48
	ds_store_2addr_b32 v187, v0, v1 offset0:59 offset1:108
	v_add_co_u32 v0, vcc_lo, v2, s2
	global_load_b32 v2, v[2:3], off
	s_wait_alu 0xfffd
	v_add_co_ci_u32_e32 v1, vcc_lo, s3, v3, vcc_lo
	scratch_store_b32 off, v6, off offset:268 ; 4-byte Folded Spill
	global_load_b32 v16, v[0:1], off
	s_wait_loadcnt 0x2
	v_lshrrev_b32_e32 v3, 16, v4
	v_mul_f16_e32 v5, v6, v4
	s_delay_alu instid0(VALU_DEP_1) | instskip(SKIP_3) | instid1(VALU_DEP_2)
	v_fma_f16 v5, v48, v3, -v5
	v_mul_f16_e32 v3, v6, v3
	s_wait_loadcnt 0x1
	v_mul_f16_e32 v6, v7, v2
	v_fmac_f16_e32 v3, v48, v4
	v_lshrrev_b32_e32 v4, 16, v2
	s_wait_loadcnt 0x0
	v_mul_f16_e32 v17, v18, v16
	s_delay_alu instid0(VALU_DEP_2) | instskip(SKIP_1) | instid1(VALU_DEP_1)
	v_fma_f16 v6, v45, v4, -v6
	v_mul_f16_e32 v4, v7, v4
	v_fmac_f16_e32 v4, v45, v2
	v_pack_b32_f16 v2, v3, v5
	s_delay_alu instid0(VALU_DEP_2) | instskip(SKIP_4) | instid1(VALU_DEP_2)
	v_pack_b32_f16 v3, v4, v6
	ds_store_2addr_b32 v152, v2, v3 offset0:98 offset1:147
	v_add_co_u32 v2, vcc_lo, v0, s2
	s_wait_alu 0xfffd
	v_add_co_ci_u32_e32 v3, vcc_lo, s3, v1, vcc_lo
	v_add_co_u32 v0, vcc_lo, v2, s2
	s_wait_alu 0xfffd
	s_delay_alu instid0(VALU_DEP_2) | instskip(NEXT) | instid1(VALU_DEP_2)
	v_add_co_ci_u32_e32 v1, vcc_lo, s3, v3, vcc_lo
	v_add_co_u32 v4, vcc_lo, v0, s2
	s_wait_alu 0xfffd
	s_delay_alu instid0(VALU_DEP_2) | instskip(NEXT) | instid1(VALU_DEP_2)
	;; [unrolled: 4-line block ×6, first 2 shown]
	v_add_co_ci_u32_e32 v13, vcc_lo, s3, v11, vcc_lo
	v_add_co_u32 v14, vcc_lo, v12, s2
	global_load_b32 v12, v[12:13], off
	s_wait_alu 0xfffd
	v_add_co_ci_u32_e32 v15, vcc_lo, s3, v13, vcc_lo
	v_lshrrev_b32_e32 v13, 16, v16
	s_delay_alu instid0(VALU_DEP_1) | instskip(SKIP_1) | instid1(VALU_DEP_1)
	v_fma_f16 v17, v41, v13, -v17
	v_mul_f16_e32 v13, v18, v13
	v_fmac_f16_e32 v13, v41, v16
	s_wait_loadcnt 0x0
	v_lshrrev_b32_e32 v16, 16, v12
	v_mul_f16_e32 v18, v19, v12
	s_delay_alu instid0(VALU_DEP_1) | instskip(SKIP_2) | instid1(VALU_DEP_2)
	v_fma_f16 v18, v27, v16, -v18
	v_mul_f16_e32 v16, v19, v16
	v_lshrrev_b32_e32 v19, 16, v33
	v_fmac_f16_e32 v16, v27, v12
	v_pack_b32_f16 v12, v13, v17
	v_lshrrev_b32_e32 v17, 16, v24
	scratch_store_b32 off, v24, off offset:136 ; 4-byte Folded Spill
	v_pack_b32_f16 v13, v16, v18
	v_lshrrev_b32_e32 v16, 16, v44
	s_clause 0x2
	scratch_store_b32 off, v17, off offset:140
	scratch_store_b32 off, v44, off offset:208
	;; [unrolled: 1-line block ×3, first 2 shown]
	ds_store_2addr_b32 v217, v12, v13 offset0:106 offset1:155
	scratch_store_b32 off, v16, off offset:212 ; 4-byte Folded Spill
	global_load_b32 v12, v[2:3], off
	global_load_b32 v13, v[14:15], off
	v_add_co_u32 v2, vcc_lo, v14, s2
	s_wait_alu 0xfffd
	v_add_co_ci_u32_e32 v3, vcc_lo, s3, v15, vcc_lo
	v_lshrrev_b32_e32 v18, 16, v23
	s_wait_loadcnt 0x1
	v_lshrrev_b32_e32 v14, 16, v12
	v_mul_f16_e32 v15, v16, v12
	s_delay_alu instid0(VALU_DEP_1) | instskip(SKIP_3) | instid1(VALU_DEP_2)
	v_fma_f16 v15, v44, v14, -v15
	v_mul_f16_e32 v14, v16, v14
	s_wait_loadcnt 0x0
	v_mul_f16_e32 v16, v17, v13
	v_fmac_f16_e32 v14, v44, v12
	v_lshrrev_b32_e32 v12, 16, v13
	s_delay_alu instid0(VALU_DEP_1) | instskip(SKIP_1) | instid1(VALU_DEP_1)
	v_fma_f16 v16, v24, v12, -v16
	v_mul_f16_e32 v12, v17, v12
	v_fmac_f16_e32 v12, v24, v13
	v_pack_b32_f16 v13, v14, v15
	s_delay_alu instid0(VALU_DEP_2)
	v_pack_b32_f16 v12, v12, v16
	ds_store_2addr_b32 v195, v13, v12 offset0:65 offset1:114
	global_load_b32 v12, v[0:1], off
	v_add_co_u32 v0, vcc_lo, v2, s2
	global_load_b32 v2, v[2:3], off
	s_clause 0x3
	global_load_b32 v14, v152, s[4:5] offset:4704
	global_load_b32 v15, v152, s[4:5] offset:4900
	;; [unrolled: 1-line block ×4, first 2 shown]
	s_wait_alu 0xfffd
	v_add_co_ci_u32_e32 v1, vcc_lo, s3, v3, vcc_lo
	global_load_b32 v4, v[4:5], off
	s_clause 0x3
	scratch_store_b32 off, v18, off offset:92
	scratch_store_b32 off, v40, off offset:192
	scratch_store_b32 off, v36, off offset:128
	scratch_store_b32 off, v19, off offset:44
	s_wait_loadcnt 0x6
	v_lshrrev_b32_e32 v3, 16, v12
	s_wait_loadcnt 0x4
	v_lshrrev_b32_e32 v16, 16, v14
	s_clause 0x1
	scratch_store_b32 off, v14, off offset:184
	scratch_store_b32 off, v16, off offset:188
	v_mul_f16_e32 v13, v16, v12
	s_delay_alu instid0(VALU_DEP_1)
	v_fma_f16 v13, v14, v3, -v13
	v_mul_f16_e32 v3, v16, v3
	s_wait_loadcnt 0x3
	v_lshrrev_b32_e32 v16, 16, v15
	scratch_store_b32 off, v15, off offset:144 ; 4-byte Folded Spill
	v_fmac_f16_e32 v3, v14, v12
	scratch_store_b32 off, v16, off offset:148 ; 4-byte Folded Spill
	v_lshrrev_b32_e32 v12, 16, v2
	v_mul_f16_e32 v14, v16, v2
	s_delay_alu instid0(VALU_DEP_1) | instskip(SKIP_1) | instid1(VALU_DEP_1)
	v_fma_f16 v14, v15, v12, -v14
	v_mul_f16_e32 v12, v16, v12
	v_fmac_f16_e32 v12, v15, v2
	v_pack_b32_f16 v2, v3, v13
	global_load_b32 v13, v152, s[4:5] offset:6272
	v_pack_b32_f16 v3, v12, v14
	v_lshrrev_b32_e32 v12, 16, v40
	ds_store_2addr_b32 v208, v2, v3 offset0:152 offset1:201
	v_add_co_u32 v2, vcc_lo, v0, s2
	global_load_b32 v0, v[0:1], off
	s_wait_alu 0xfffd
	v_add_co_ci_u32_e32 v3, vcc_lo, s3, v1, vcc_lo
	s_wait_loadcnt 0x2
	v_lshrrev_b32_e32 v1, 16, v4
	v_mul_f16_e32 v5, v12, v4
	scratch_store_b32 off, v12, off offset:196 ; 4-byte Folded Spill
	v_fma_f16 v5, v40, v1, -v5
	v_mul_f16_e32 v1, v12, v1
	s_delay_alu instid0(VALU_DEP_1)
	v_fmac_f16_e32 v1, v40, v4
	s_wait_loadcnt 0x1
	v_lshrrev_b32_e32 v14, 16, v13
	scratch_store_b32 off, v14, off offset:124 ; 4-byte Folded Spill
	s_wait_loadcnt 0x0
	v_lshrrev_b32_e32 v4, 16, v0
	v_mul_f16_e32 v12, v14, v0
	s_delay_alu instid0(VALU_DEP_1) | instskip(SKIP_1) | instid1(VALU_DEP_1)
	v_fma_f16 v12, v13, v4, -v12
	v_mul_f16_e32 v4, v14, v4
	v_fmac_f16_e32 v4, v13, v0
	v_pack_b32_f16 v0, v1, v5
	s_delay_alu instid0(VALU_DEP_2)
	v_pack_b32_f16 v1, v4, v12
	v_add_nc_u32_e32 v4, 0x1600, v152
	ds_store_2addr_b32 v4, v0, v1 offset0:111 offset1:160
	v_mov_b32_e32 v172, v4
	global_load_b32 v4, v[6:7], off
	v_add_co_u32 v0, vcc_lo, v2, s2
	global_load_b32 v2, v[2:3], off
	v_lshrrev_b32_e32 v6, 16, v39
	s_wait_alu 0xfffd
	v_add_co_ci_u32_e32 v1, vcc_lo, s3, v3, vcc_lo
	v_lshrrev_b32_e32 v7, 16, v36
	s_clause 0x2
	scratch_store_b32 off, v39, off offset:168
	scratch_store_b32 off, v6, off offset:172
	;; [unrolled: 1-line block ×3, first 2 shown]
	s_wait_loadcnt 0x1
	v_lshrrev_b32_e32 v3, 16, v4
	v_mul_f16_e32 v5, v6, v4
	s_delay_alu instid0(VALU_DEP_1) | instskip(SKIP_3) | instid1(VALU_DEP_2)
	v_fma_f16 v5, v39, v3, -v5
	v_mul_f16_e32 v3, v6, v3
	s_wait_loadcnt 0x0
	v_mul_f16_e32 v6, v7, v2
	v_fmac_f16_e32 v3, v39, v4
	v_lshrrev_b32_e32 v4, 16, v2
	s_delay_alu instid0(VALU_DEP_1) | instskip(SKIP_2) | instid1(VALU_DEP_2)
	v_fma_f16 v6, v36, v4, -v6
	v_mul_f16_e32 v4, v7, v4
	v_lshrrev_b32_e32 v7, 16, v28
	v_fmac_f16_e32 v4, v36, v2
	v_pack_b32_f16 v2, v3, v5
	scratch_store_b32 off, v7, off offset:108 ; 4-byte Folded Spill
	v_pack_b32_f16 v3, v4, v6
	global_load_b32 v4, v[8:9], off
	v_lshrrev_b32_e32 v6, 16, v29
	scratch_store_b32 off, v29, off offset:176 ; 4-byte Folded Spill
	ds_store_2addr_b32 v169, v2, v3 offset0:70 offset1:119
	v_add_co_u32 v2, vcc_lo, v0, s8
	scratch_store_b32 off, v6, off offset:180 ; 4-byte Folded Spill
	global_load_b32 v0, v[0:1], off
	s_wait_alu 0xfffd
	v_add_co_ci_u32_e32 v3, vcc_lo, s9, v1, vcc_lo
	s_wait_loadcnt 0x1
	v_lshrrev_b32_e32 v1, 16, v4
	v_mul_f16_e32 v5, v6, v4
	s_delay_alu instid0(VALU_DEP_1) | instskip(SKIP_3) | instid1(VALU_DEP_2)
	v_fma_f16 v5, v29, v1, -v5
	v_mul_f16_e32 v1, v6, v1
	s_wait_loadcnt 0x0
	v_mul_f16_e32 v6, v7, v0
	v_fmac_f16_e32 v1, v29, v4
	v_lshrrev_b32_e32 v4, 16, v0
	s_delay_alu instid0(VALU_DEP_1)
	v_fma_f16 v6, v28, v4, -v6
	v_mul_f16_e32 v4, v7, v4
	v_lshrrev_b32_e32 v7, 16, v35
	s_clause 0x1
	scratch_store_b32 off, v35, off offset:112
	scratch_store_b32 off, v13, off offset:120
	v_fmac_f16_e32 v4, v28, v0
	v_pack_b32_f16 v0, v1, v5
	scratch_store_b32 off, v7, off offset:116 ; 4-byte Folded Spill
	v_pack_b32_f16 v1, v4, v6
	global_load_b32 v4, v[10:11], off
	v_lshrrev_b32_e32 v6, 16, v37
	scratch_store_b32 off, v37, off offset:152 ; 4-byte Folded Spill
	ds_store_2addr_b32 v187, v0, v1 offset0:157 offset1:206
	v_add_co_u32 v0, vcc_lo, v2, s2
	scratch_store_b32 off, v6, off offset:156 ; 4-byte Folded Spill
	global_load_b32 v2, v[2:3], off
	s_wait_alu 0xfffd
	v_add_co_ci_u32_e32 v1, vcc_lo, s3, v3, vcc_lo
	global_load_b32 v16, v[0:1], off
	s_wait_loadcnt 0x2
	v_lshrrev_b32_e32 v3, 16, v4
	v_mul_f16_e32 v5, v6, v4
	s_delay_alu instid0(VALU_DEP_1) | instskip(SKIP_3) | instid1(VALU_DEP_2)
	v_fma_f16 v5, v37, v3, -v5
	v_mul_f16_e32 v3, v6, v3
	s_wait_loadcnt 0x1
	v_mul_f16_e32 v6, v7, v2
	v_fmac_f16_e32 v3, v37, v4
	v_lshrrev_b32_e32 v4, 16, v2
	s_wait_loadcnt 0x0
	v_mul_f16_e32 v17, v18, v16
	s_delay_alu instid0(VALU_DEP_2) | instskip(SKIP_1) | instid1(VALU_DEP_1)
	v_fma_f16 v6, v35, v4, -v6
	v_mul_f16_e32 v4, v7, v4
	v_fmac_f16_e32 v4, v35, v2
	v_pack_b32_f16 v2, v3, v5
	s_delay_alu instid0(VALU_DEP_2) | instskip(SKIP_4) | instid1(VALU_DEP_2)
	v_pack_b32_f16 v3, v4, v6
	ds_store_2addr_b32 v152, v2, v3 offset0:196 offset1:245
	v_add_co_u32 v2, vcc_lo, v0, s2
	s_wait_alu 0xfffd
	v_add_co_ci_u32_e32 v3, vcc_lo, s3, v1, vcc_lo
	v_add_co_u32 v0, vcc_lo, v2, s2
	s_wait_alu 0xfffd
	s_delay_alu instid0(VALU_DEP_2) | instskip(NEXT) | instid1(VALU_DEP_2)
	v_add_co_ci_u32_e32 v1, vcc_lo, s3, v3, vcc_lo
	v_add_co_u32 v4, vcc_lo, v0, s2
	s_wait_alu 0xfffd
	s_delay_alu instid0(VALU_DEP_2) | instskip(NEXT) | instid1(VALU_DEP_2)
	v_add_co_ci_u32_e32 v5, vcc_lo, s3, v1, vcc_lo
	v_add_co_u32 v6, vcc_lo, v4, s2
	s_wait_alu 0xfffd
	s_delay_alu instid0(VALU_DEP_2) | instskip(SKIP_4) | instid1(VALU_DEP_2)
	v_add_co_ci_u32_e32 v7, vcc_lo, s3, v5, vcc_lo
	global_load_b32 v4, v[4:5], off
	v_add_co_u32 v8, vcc_lo, v6, s2
	s_wait_alu 0xfffd
	v_add_co_ci_u32_e32 v9, vcc_lo, s3, v7, vcc_lo
	v_add_co_u32 v10, vcc_lo, v8, s8
	s_wait_alu 0xfffd
	s_delay_alu instid0(VALU_DEP_2) | instskip(NEXT) | instid1(VALU_DEP_2)
	v_add_co_ci_u32_e32 v11, vcc_lo, s9, v9, vcc_lo
	v_add_co_u32 v12, vcc_lo, v10, s2
	s_wait_alu 0xfffd
	s_delay_alu instid0(VALU_DEP_2) | instskip(NEXT) | instid1(VALU_DEP_2)
	v_add_co_ci_u32_e32 v13, vcc_lo, s3, v11, vcc_lo
	v_add_co_u32 v14, vcc_lo, v12, s2
	global_load_b32 v12, v[12:13], off
	s_wait_alu 0xfffd
	v_add_co_ci_u32_e32 v15, vcc_lo, s3, v13, vcc_lo
	v_lshrrev_b32_e32 v13, 16, v16
	s_delay_alu instid0(VALU_DEP_1) | instskip(SKIP_1) | instid1(VALU_DEP_1)
	v_fma_f16 v17, v23, v13, -v17
	v_mul_f16_e32 v13, v18, v13
	v_fmac_f16_e32 v13, v23, v16
	s_wait_loadcnt 0x0
	v_lshrrev_b32_e32 v16, 16, v12
	v_mul_f16_e32 v18, v19, v12
	s_delay_alu instid0(VALU_DEP_1) | instskip(SKIP_1) | instid1(VALU_DEP_1)
	v_fma_f16 v18, v33, v16, -v18
	v_mul_f16_e32 v16, v19, v16
	v_fmac_f16_e32 v16, v33, v12
	v_pack_b32_f16 v12, v13, v17
	v_lshrrev_b32_e32 v17, 16, v32
	s_clause 0x1
	scratch_store_b32 off, v32, off offset:32
	scratch_store_b32 off, v33, off offset:40
	v_pack_b32_f16 v13, v16, v18
	v_lshrrev_b32_e32 v16, 16, v22
	s_clause 0x2
	scratch_store_b32 off, v22, off offset:96
	scratch_store_b32 off, v28, off offset:104
	;; [unrolled: 1-line block ×3, first 2 shown]
	ds_store_2addr_b32 v181, v12, v13 offset0:76 offset1:125
	scratch_store_b32 off, v16, off offset:100 ; 4-byte Folded Spill
	global_load_b32 v12, v[2:3], off
	global_load_b32 v13, v[14:15], off
	v_add_co_u32 v2, vcc_lo, v14, s2
	s_wait_alu 0xfffd
	v_add_co_ci_u32_e32 v3, vcc_lo, s3, v15, vcc_lo
	s_wait_loadcnt 0x1
	v_lshrrev_b32_e32 v14, 16, v12
	v_mul_f16_e32 v15, v16, v12
	s_delay_alu instid0(VALU_DEP_1) | instskip(SKIP_3) | instid1(VALU_DEP_2)
	v_fma_f16 v15, v22, v14, -v15
	v_mul_f16_e32 v14, v16, v14
	s_wait_loadcnt 0x0
	v_mul_f16_e32 v16, v17, v13
	v_fmac_f16_e32 v14, v22, v12
	v_lshrrev_b32_e32 v12, 16, v13
	s_delay_alu instid0(VALU_DEP_1) | instskip(SKIP_1) | instid1(VALU_DEP_1)
	v_fma_f16 v16, v32, v12, -v16
	v_mul_f16_e32 v12, v17, v12
	v_fmac_f16_e32 v12, v32, v13
	v_pack_b32_f16 v13, v14, v15
	v_lshrrev_b32_e32 v14, 16, v21
	v_lshrrev_b32_e32 v15, 16, v31
	scratch_store_b32 off, v23, off offset:88 ; 4-byte Folded Spill
	v_pack_b32_f16 v12, v12, v16
	s_clause 0x1
	scratch_store_b32 off, v14, off offset:84
	scratch_store_b32 off, v15, off offset:28
	ds_store_2addr_b32 v195, v13, v12 offset0:163 offset1:212
	global_load_b32 v12, v[0:1], off
	v_add_co_u32 v0, vcc_lo, v2, s2
	global_load_b32 v2, v[2:3], off
	s_wait_alu 0xfffd
	v_add_co_ci_u32_e32 v1, vcc_lo, s3, v3, vcc_lo
	s_wait_loadcnt 0x1
	v_lshrrev_b32_e32 v3, 16, v12
	v_mul_f16_e32 v13, v14, v12
	s_delay_alu instid0(VALU_DEP_1) | instskip(SKIP_3) | instid1(VALU_DEP_2)
	v_fma_f16 v13, v21, v3, -v13
	v_mul_f16_e32 v3, v14, v3
	s_wait_loadcnt 0x0
	v_mul_f16_e32 v14, v15, v2
	v_fmac_f16_e32 v3, v21, v12
	v_lshrrev_b32_e32 v12, 16, v2
	s_delay_alu instid0(VALU_DEP_1) | instskip(SKIP_1) | instid1(VALU_DEP_1)
	v_fma_f16 v14, v31, v12, -v14
	v_mul_f16_e32 v12, v15, v12
	v_fmac_f16_e32 v12, v31, v2
	v_pack_b32_f16 v2, v3, v13
	v_lshrrev_b32_e32 v13, 16, v30
	s_clause 0x1
	scratch_store_b32 off, v30, off offset:16
	scratch_store_b32 off, v31, off offset:24
	v_pack_b32_f16 v3, v12, v14
	v_add_nc_u32_e32 v12, 0x1200, v152
	scratch_store_b32 off, v13, off offset:20 ; 4-byte Folded Spill
	ds_store_2addr_b32 v12, v2, v3 offset0:122 offset1:171
	v_add_co_u32 v2, vcc_lo, v0, s2
	global_load_b32 v0, v[0:1], off
	v_mov_b32_e32 v93, v12
	v_lshrrev_b32_e32 v12, 16, v20
	s_wait_alu 0xfffd
	v_add_co_ci_u32_e32 v3, vcc_lo, s3, v1, vcc_lo
	v_lshrrev_b32_e32 v1, 16, v4
	s_clause 0x1
	scratch_store_b32 off, v20, off offset:72
	scratch_store_b32 off, v12, off offset:76
	v_mul_f16_e32 v5, v12, v4
	scratch_store_b32 off, v21, off offset:80 ; 4-byte Folded Spill
	v_fma_f16 v5, v20, v1, -v5
	v_mul_f16_e32 v1, v12, v1
	s_delay_alu instid0(VALU_DEP_1) | instskip(NEXT) | instid1(VALU_DEP_1)
	v_fmac_f16_e32 v1, v20, v4
	v_pack_b32_f16 v1, v1, v5
	s_wait_loadcnt 0x0
	v_lshrrev_b32_e32 v4, 16, v0
	s_delay_alu instid0(VALU_DEP_1) | instskip(NEXT) | instid1(VALU_DEP_1)
	v_mul_f16_e32 v12, v13, v4
	v_fmac_f16_e32 v12, v30, v0
	v_mul_f16_e32 v0, v13, v0
	s_delay_alu instid0(VALU_DEP_1)
	v_fma_f16 v0, v30, v4, -v0
	global_load_b32 v4, v[6:7], off
	v_pack_b32_f16 v0, v12, v0
	ds_store_2addr_b32 v194, v1, v0 offset0:81 offset1:130
	v_add_co_u32 v0, vcc_lo, v2, s2
	global_load_b32 v2, v[2:3], off
	global_load_b32 v6, v152, s[4:5] offset:7840
	s_wait_alu 0xfffd
	v_add_co_ci_u32_e32 v1, vcc_lo, s3, v3, vcc_lo
	s_wait_loadcnt 0x2
	v_lshrrev_b32_e32 v3, 16, v4
	s_wait_loadcnt 0x0
	v_lshrrev_b32_e32 v7, 16, v6
	s_clause 0x1
	scratch_store_b32 off, v6, off offset:64
	scratch_store_b32 off, v7, off offset:68
	v_mul_f16_e32 v5, v7, v3
	s_delay_alu instid0(VALU_DEP_1)
	v_fmac_f16_e32 v5, v6, v4
	v_mul_f16_e32 v4, v7, v4
	v_lshrrev_b32_e32 v7, 16, v25
	scratch_store_b32 off, v25, off offset:8 ; 4-byte Folded Spill
	v_fma_f16 v3, v6, v3, -v4
	scratch_store_b32 off, v7, off offset:12 ; 4-byte Folded Spill
	v_lshrrev_b32_e32 v4, 16, v2
	v_pack_b32_f16 v3, v5, v3
	s_delay_alu instid0(VALU_DEP_2) | instskip(NEXT) | instid1(VALU_DEP_1)
	v_mul_f16_e32 v6, v7, v4
	v_fmac_f16_e32 v6, v25, v2
	v_mul_f16_e32 v2, v7, v2
	s_delay_alu instid0(VALU_DEP_1) | instskip(SKIP_1) | instid1(VALU_DEP_2)
	v_fma_f16 v2, v25, v4, -v2
	v_lshrrev_b32_e32 v4, 16, v26
	v_pack_b32_f16 v2, v6, v2
	ds_store_2addr_b32 v169, v3, v2 offset0:168 offset1:217
	global_load_b32 v2, v[8:9], off
	global_load_b32 v0, v[0:1], off
	global_load_b32 v5, v152, s[4:5] offset:9408
	s_load_b128 s[8:11], s[10:11], 0x0
	scratch_store_b32 off, v4, off offset:60 ; 4-byte Folded Spill
	s_wait_kmcnt 0x0
	s_mul_u64 s[14:15], s[8:9], 0x55c
	s_wait_loadcnt 0x2
	v_lshrrev_b32_e32 v1, 16, v2
	s_wait_loadcnt 0x0
	v_lshrrev_b32_e32 v6, 16, v5
	scratch_store_b32 off, v5, off          ; 4-byte Folded Spill
	v_mul_f16_e32 v3, v4, v1
	scratch_store_b32 off, v6, off offset:4 ; 4-byte Folded Spill
	v_fmac_f16_e32 v3, v26, v2
	v_mul_f16_e32 v2, v4, v2
	s_delay_alu instid0(VALU_DEP_1) | instskip(SKIP_1) | instid1(VALU_DEP_2)
	v_fma_f16 v1, v26, v1, -v2
	v_lshrrev_b32_e32 v2, 16, v0
	v_pack_b32_f16 v1, v3, v1
	s_delay_alu instid0(VALU_DEP_2)
	v_mul_f16_e32 v4, v6, v2
	v_lshrrev_b32_e32 v3, 16, v34
	s_clause 0x1
	scratch_store_b32 off, v34, off offset:48
	scratch_store_b32 off, v26, off offset:56
	v_fmac_f16_e32 v4, v5, v0
	v_mul_f16_e32 v0, v6, v0
	scratch_store_b32 off, v3, off offset:52 ; 4-byte Folded Spill
	v_fma_f16 v0, v5, v2, -v0
	v_add_nc_u32_e32 v2, 0x2200, v152
	s_delay_alu instid0(VALU_DEP_2) | instskip(NEXT) | instid1(VALU_DEP_2)
	v_pack_b32_f16 v0, v4, v0
	v_mov_b32_e32 v250, v2
	ds_store_2addr_b32 v2, v1, v0 offset0:127 offset1:176
	global_load_b32 v0, v[10:11], off
	v_add_nc_u32_e32 v10, 0xe00, v152
	s_delay_alu instid0(VALU_DEP_1) | instskip(SKIP_2) | instid1(VALU_DEP_1)
	v_mov_b32_e32 v94, v10
	s_wait_loadcnt 0x0
	v_lshrrev_b32_e32 v1, 16, v0
	v_mul_f16_e32 v2, v3, v1
	s_delay_alu instid0(VALU_DEP_1) | instskip(SKIP_1) | instid1(VALU_DEP_1)
	v_fmac_f16_e32 v2, v34, v0
	v_mul_f16_e32 v0, v3, v0
	v_fma_f16 v0, v34, v1, -v0
	s_delay_alu instid0(VALU_DEP_1)
	v_pack_b32_f16 v0, v2, v0
	ds_store_b32 v152, v0 offset:1176
	global_wb scope:SCOPE_SE
	s_wait_storecnt_dscnt 0x0
	s_barrier_signal -1
	s_barrier_wait -1
	global_inv scope:SCOPE_SE
	ds_load_2addr_b32 v[0:1], v252 offset0:38 offset1:87
	ds_load_2addr_b32 v[6:7], v187 offset0:10 offset1:59
	;; [unrolled: 1-line block ×3, first 2 shown]
	s_wait_dscnt 0x2
	v_lshrrev_b32_e32 v2, 16, v1
	s_wait_dscnt 0x1
	v_lshrrev_b32_e32 v3, 16, v6
	;; [unrolled: 2-line block ×3, first 2 shown]
	s_delay_alu instid0(VALU_DEP_2) | instskip(SKIP_4) | instid1(VALU_DEP_1)
	v_add_f16_e32 v12, v2, v3
	v_sub_f16_e32 v13, v2, v3
	ds_load_2addr_b32 v[2:3], v194 offset0:130 offset1:179
	s_wait_dscnt 0x0
	v_lshrrev_b32_e32 v5, 16, v3
	v_add_f16_e32 v14, v4, v5
	v_sub_f16_e32 v18, v4, v5
	ds_load_2addr_b32 v[4:5], v10 offset0:84 offset1:133
	ds_load_2addr_b32 v[10:11], v223 offset0:92 offset1:141
	v_sub_f16_e32 v39, v14, v12
	v_sub_f16_e32 v43, v18, v13
	s_delay_alu instid0(VALU_DEP_1) | instskip(SKIP_4) | instid1(VALU_DEP_1)
	v_mul_f16_e32 v45, 0xbb00, v43
	s_wait_dscnt 0x1
	v_lshrrev_b32_e32 v15, 16, v5
	s_wait_dscnt 0x0
	v_lshrrev_b32_e32 v16, 16, v10
	v_add_f16_e32 v17, v15, v16
	v_sub_f16_e32 v16, v16, v15
	v_add_f16_e32 v15, v14, v12
	s_delay_alu instid0(VALU_DEP_3)
	v_sub_f16_e32 v19, v12, v17
	v_sub_f16_e32 v40, v17, v14
	v_add_f16_e32 v12, v1, v6
	v_add_f16_e32 v14, v8, v3
	v_add_f16_e32 v20, v17, v15
	v_add_f16_e32 v15, v5, v10
	v_sub_f16_e32 v3, v8, v3
	v_sub_f16_e32 v5, v10, v5
	v_add_f16_e32 v17, v14, v12
	v_sub_f16_e32 v1, v1, v6
	v_sub_f16_e32 v41, v14, v12
	;; [unrolled: 1-line block ×4, first 2 shown]
	v_add_f16_e32 v22, v15, v17
	v_add_f16_e32 v6, v5, v3
	v_sub_f16_e32 v14, v5, v3
	v_sub_f16_e32 v15, v1, v5
	v_add_f16_e32 v5, v16, v18
	v_sub_f16_e32 v3, v3, v1
	v_add_f16_e32 v1, v6, v1
	v_sub_f16_e32 v17, v16, v18
	v_mul_f16_e32 v18, 0x3a52, v21
	v_add_f16_e32 v8, v5, v13
	ds_load_2addr_b32 v[5:6], v152 offset1:49
	v_mul_f16_e32 v19, 0x3a52, v19
	v_sub_f16_e32 v16, v13, v16
	v_mul_f16_e32 v58, 0xb846, v17
	v_mul_f16_e32 v59, 0xb846, v14
	v_fmamk_f16 v14, v42, 0x2b26, v18
	v_fmamk_f16 v17, v40, 0x2b26, v19
	v_mul_f16_e32 v42, 0x2b26, v42
	v_mul_f16_e32 v40, 0x2b26, v40
	v_fmac_f16_e32 v45, 0xb574, v16
	v_fmamk_f16 v60, v16, 0x3574, v58
	v_fmamk_f16 v61, v15, 0x3574, v59
	s_delay_alu instid0(VALU_DEP_3) | instskip(NEXT) | instid1(VALU_DEP_3)
	v_fmac_f16_e32 v45, 0x370e, v8
	v_fmac_f16_e32 v60, 0x370e, v8
	s_delay_alu instid0(VALU_DEP_3) | instskip(SKIP_3) | instid1(VALU_DEP_2)
	v_fmac_f16_e32 v61, 0x370e, v1
	s_wait_dscnt 0x0
	v_add_f16_e32 v10, v22, v5
	v_lshrrev_b32_e32 v5, 16, v5
	v_and_b32_e32 v12, 0xffff, v10
	s_delay_alu instid0(VALU_DEP_2) | instskip(SKIP_3) | instid1(VALU_DEP_4)
	v_add_f16_e32 v44, v20, v5
	v_fmac_f16_e32 v10, 0xbcab, v22
	v_mul_f16_e32 v5, 0xbb00, v3
	v_fma_f16 v3, v3, 0x3b00, -v59
	v_lshlrev_b32_e32 v13, 16, v44
	v_fmac_f16_e32 v44, 0xbcab, v20
	v_fma_f16 v20, v41, 0xb9e0, -v18
	v_fma_f16 v41, v41, 0x39e0, -v42
	;; [unrolled: 1-line block ×3, first 2 shown]
	v_fmac_f16_e32 v5, 0xb574, v15
	v_add_f16_e32 v62, v14, v10
	v_add_f16_e32 v47, v20, v10
	v_fma_f16 v20, v39, 0xb9e0, -v19
	v_fma_f16 v39, v39, 0x39e0, -v40
	v_or_b32_e32 v65, v13, v12
	v_mul_lo_u16 v12, v38, 7
	v_add_f16_e32 v10, v41, v10
	v_fmac_f16_e32 v42, 0x370e, v8
	v_add_f16_e32 v8, v39, v44
	v_fmac_f16_e32 v3, 0x370e, v1
	;; [unrolled: 2-line block ×3, first 2 shown]
	v_add_f16_e32 v63, v17, v44
	v_and_b32_e32 v12, 0xffff, v12
	v_sub_f16_e32 v1, v10, v42
	v_add_f16_e32 v10, v42, v10
	v_sub_f16_e32 v39, v8, v3
	v_add_f16_e32 v3, v3, v8
	v_add_f16_e32 v20, v45, v47
	v_sub_f16_e32 v21, v46, v5
	v_add_f16_e32 v14, v62, v60
	v_sub_f16_e32 v15, v63, v61
	v_lshlrev_b32_e32 v164, 2, v12
	v_pack_b32_f16 v8, v10, v39
	v_pack_b32_f16 v1, v1, v3
	;; [unrolled: 1-line block ×4, first 2 shown]
	ds_load_b32 v48, v152 offset:9408
	ds_load_2addr_b32 v[49:50], v252 offset0:136 offset1:185
	ds_load_2addr_b32 v[51:52], v208 offset0:54 offset1:103
	;; [unrolled: 1-line block ×17, first 2 shown]
	global_wb scope:SCOPE_SE
	s_wait_dscnt 0x0
	s_barrier_signal -1
	s_barrier_wait -1
	global_inv scope:SCOPE_SE
	ds_store_b32 v164, v65
	ds_store_2addr_b32 v164, v64, v57 offset0:1 offset1:2
	ds_store_2addr_b32 v164, v1, v8 offset0:3 offset1:4
	v_sub_f16_e32 v1, v47, v45
	v_sub_f16_e32 v3, v62, v60
	v_add_f16_e32 v8, v61, v63
	v_add_f16_e32 v5, v5, v46
	v_lshrrev_b32_e32 v39, 16, v53
	v_add_f16_e32 v10, v9, v53
	v_lshrrev_b32_e32 v42, 16, v51
	v_pack_b32_f16 v3, v3, v8
	v_pack_b32_f16 v1, v1, v5
	v_sub_f16_e32 v5, v49, v7
	v_add_f16_e32 v41, v51, v11
	ds_store_2addr_b32 v164, v1, v3 offset0:5 offset1:6
	v_lshrrev_b32_e32 v1, 16, v7
	v_add_f16_e32 v3, v49, v7
	v_lshrrev_b32_e32 v7, 16, v49
	s_delay_alu instid0(VALU_DEP_2) | instskip(NEXT) | instid1(VALU_DEP_2)
	v_sub_f16_e32 v44, v10, v3
	v_add_f16_e32 v8, v7, v1
	v_sub_f16_e32 v1, v7, v1
	v_lshrrev_b32_e32 v7, 16, v9
	v_sub_f16_e32 v9, v9, v53
	v_add_co_u32 v53, null, 0x93, v176
	s_delay_alu instid0(VALU_DEP_3)
	v_add_f16_e32 v40, v7, v39
	v_sub_f16_e32 v7, v7, v39
	v_lshrrev_b32_e32 v39, 16, v11
	v_sub_f16_e32 v11, v11, v51
	v_and_b32_e32 v61, 0xff, v53
	v_sub_f16_e32 v45, v40, v8
	s_delay_alu instid0(VALU_DEP_4)
	v_add_f16_e32 v43, v42, v39
	v_sub_f16_e32 v39, v39, v42
	v_add_f16_e32 v42, v10, v3
	v_sub_f16_e32 v3, v3, v41
	v_sub_f16_e32 v10, v41, v10
	v_add_f16_e32 v46, v11, v9
	v_sub_f16_e32 v47, v11, v9
	v_add_f16_e32 v41, v41, v42
	v_add_f16_e32 v42, v40, v8
	v_sub_f16_e32 v8, v8, v43
	v_sub_f16_e32 v40, v43, v40
	;; [unrolled: 1-line block ×4, first 2 shown]
	v_add_f16_e32 v42, v43, v42
	v_lshrrev_b32_e32 v43, 16, v6
	v_add_f16_e32 v6, v41, v6
	v_add_f16_e32 v5, v46, v5
	;; [unrolled: 1-line block ×3, first 2 shown]
	v_sub_f16_e32 v49, v39, v7
	v_sub_f16_e32 v39, v1, v39
	;; [unrolled: 1-line block ×3, first 2 shown]
	v_mul_f16_e32 v3, 0x3a52, v3
	v_add_f16_e32 v1, v46, v1
	v_and_b32_e32 v46, 0xffff, v6
	v_fmac_f16_e32 v6, 0xbcab, v41
	v_add_f16_e32 v41, v42, v43
	v_mul_f16_e32 v8, 0x3a52, v8
	s_delay_alu instid0(VALU_DEP_2) | instskip(SKIP_4) | instid1(VALU_DEP_3)
	v_lshlrev_b32_e32 v43, 16, v41
	v_fmac_f16_e32 v41, 0xbcab, v42
	v_mul_f16_e32 v42, 0x2b26, v10
	v_fmamk_f16 v10, v10, 0x2b26, v3
	v_fma_f16 v3, v44, 0xb9e0, -v3
	v_fma_f16 v42, v44, 0x39e0, -v42
	v_mul_f16_e32 v44, 0xb846, v49
	v_mul_f16_e32 v49, 0xbb00, v7
	s_delay_alu instid0(VALU_DEP_4)
	v_add_f16_e32 v3, v3, v6
	v_add_f16_e32 v10, v10, v6
	;; [unrolled: 1-line block ×3, first 2 shown]
	v_fma_f16 v7, v7, 0x3b00, -v44
	v_fmac_f16_e32 v49, 0xb574, v39
	v_fmamk_f16 v39, v39, 0x3574, v44
	v_mul_f16_e32 v44, 0x2b26, v40
	v_fmamk_f16 v40, v40, 0x2b26, v8
	v_fma_f16 v8, v45, 0xb9e0, -v8
	v_fmac_f16_e32 v7, 0x370e, v1
	v_fmac_f16_e32 v39, 0x370e, v1
	v_fma_f16 v44, v45, 0x39e0, -v44
	v_mul_f16_e32 v45, 0xb846, v47
	v_mul_f16_e32 v47, 0xbb00, v9
	v_add_f16_e32 v8, v8, v41
	v_add_f16_e32 v40, v40, v41
	;; [unrolled: 1-line block ×3, first 2 shown]
	v_fma_f16 v9, v9, 0x3b00, -v45
	v_fmac_f16_e32 v47, 0xb574, v11
	v_fmamk_f16 v11, v11, 0x3574, v45
	v_sub_f16_e32 v42, v6, v7
	v_add_f16_e32 v6, v7, v6
	v_fmac_f16_e32 v9, 0x370e, v5
	v_fmac_f16_e32 v49, 0x370e, v1
	;; [unrolled: 1-line block ×4, first 2 shown]
	s_delay_alu instid0(VALU_DEP_4) | instskip(SKIP_1) | instid1(VALU_DEP_2)
	v_sub_f16_e32 v7, v41, v9
	v_add_f16_e32 v9, v9, v41
	v_pack_b32_f16 v1, v6, v7
	v_sub_f16_e32 v6, v10, v39
	v_add_f16_e32 v7, v11, v40
	s_delay_alu instid0(VALU_DEP_4) | instskip(SKIP_1) | instid1(VALU_DEP_3)
	v_pack_b32_f16 v5, v42, v9
	v_add_f16_e32 v9, v47, v8
	v_pack_b32_f16 v6, v6, v7
	v_sub_f16_e32 v7, v3, v49
	s_delay_alu instid0(VALU_DEP_1) | instskip(SKIP_1) | instid1(VALU_DEP_1)
	v_pack_b32_f16 v7, v7, v9
	v_mul_u32_u24_e32 v9, 7, v78
	v_lshlrev_b32_e32 v190, 2, v9
	ds_store_2addr_b32 v190, v5, v1 offset0:3 offset1:4
	ds_store_2addr_b32 v190, v7, v6 offset0:5 offset1:6
	v_add_f16_e32 v1, v49, v3
	v_sub_f16_e32 v3, v8, v47
	v_add_f16_e32 v5, v10, v39
	v_sub_f16_e32 v6, v40, v11
	v_lshrrev_b32_e32 v7, 16, v55
	v_lshrrev_b32_e32 v11, 16, v36
	v_pack_b32_f16 v1, v1, v3
	v_add_f16_e32 v9, v36, v54
	v_pack_b32_f16 v3, v5, v6
	v_or_b32_e32 v5, v43, v46
	v_sub_f16_e32 v10, v36, v54
	v_add_f16_e32 v39, v52, v34
	v_sub_f16_e32 v40, v34, v52
	ds_store_2addr_b32 v190, v3, v1 offset0:1 offset1:2
	ds_store_b32 v190, v5
	v_lshrrev_b32_e32 v1, 16, v50
	v_lshrrev_b32_e32 v34, 16, v34
	v_add_f16_e32 v3, v50, v55
	v_sub_f16_e32 v6, v50, v55
	v_sub_f16_e32 v44, v40, v10
	v_add_f16_e32 v8, v1, v7
	v_sub_f16_e32 v1, v1, v7
	v_lshrrev_b32_e32 v7, 16, v54
	v_sub_f16_e32 v43, v9, v3
	v_add_co_u32 v54, null, 0xc4, v176
	v_add_co_u32 v55, null, 0xf5, v176
	s_delay_alu instid0(VALU_DEP_4) | instskip(SKIP_3) | instid1(VALU_DEP_4)
	v_add_f16_e32 v36, v11, v7
	v_sub_f16_e32 v7, v11, v7
	v_lshrrev_b32_e32 v11, 16, v52
	v_add_co_u32 v52, null, 0x62, v176
	v_sub_f16_e32 v42, v36, v8
	v_and_b32_e32 v60, 0xff, v54
	s_delay_alu instid0(VALU_DEP_4)
	v_add_f16_e32 v41, v11, v34
	v_sub_f16_e32 v11, v34, v11
	v_add_f16_e32 v34, v36, v8
	v_and_b32_e32 v57, 0xff, v52
	v_and_b32_e32 v59, 0xffff, v55
	v_sub_f16_e32 v8, v8, v41
	v_sub_f16_e32 v36, v41, v36
	v_add_f16_e32 v34, v41, v34
	v_add_f16_e32 v41, v9, v3
	v_sub_f16_e32 v3, v3, v39
	v_sub_f16_e32 v9, v39, v9
	;; [unrolled: 1-line block ×3, first 2 shown]
	v_mul_f16_e32 v8, 0x3a52, v8
	v_add_f16_e32 v39, v39, v41
	v_add_f16_e32 v41, v40, v10
	v_sub_f16_e32 v40, v6, v40
	v_sub_f16_e32 v10, v10, v6
	v_mul_f16_e32 v3, 0x3a52, v3
	v_mul_f16_e32 v5, 0x2b26, v9
	v_add_f16_e32 v6, v41, v6
	v_add_f16_e32 v41, v11, v7
	v_sub_f16_e32 v11, v1, v11
	v_sub_f16_e32 v7, v7, v1
	v_fmamk_f16 v9, v9, 0x2b26, v3
	v_fma_f16 v3, v43, 0xb9e0, -v3
	v_add_f16_e32 v1, v41, v1
	v_add_f16_e32 v41, v39, v32
	v_lshrrev_b32_e32 v32, 16, v32
	v_fma_f16 v5, v43, 0x39e0, -v5
	v_mul_f16_e32 v43, 0xbb00, v7
	s_delay_alu instid0(VALU_DEP_4) | instskip(NEXT) | instid1(VALU_DEP_4)
	v_and_b32_e32 v46, 0xffff, v41
	v_add_f16_e32 v32, v34, v32
	v_fmac_f16_e32 v41, 0xbcab, v39
	s_delay_alu instid0(VALU_DEP_4) | instskip(NEXT) | instid1(VALU_DEP_3)
	v_fmac_f16_e32 v43, 0xb574, v11
	v_lshlrev_b32_e32 v39, 16, v32
	v_fmac_f16_e32 v32, 0xbcab, v34
	v_mul_f16_e32 v34, 0xb846, v45
	v_add_f16_e32 v5, v5, v41
	v_add_f16_e32 v9, v9, v41
	;; [unrolled: 1-line block ×3, first 2 shown]
	v_fmac_f16_e32 v43, 0x370e, v1
	v_fmamk_f16 v11, v11, 0x3574, v34
	v_fma_f16 v7, v7, 0x3b00, -v34
	v_mul_f16_e32 v34, 0x2b26, v36
	v_fmamk_f16 v36, v36, 0x2b26, v8
	v_fma_f16 v8, v42, 0xb9e0, -v8
	v_fmac_f16_e32 v11, 0x370e, v1
	v_fmac_f16_e32 v7, 0x370e, v1
	v_fma_f16 v34, v42, 0x39e0, -v34
	v_mul_f16_e32 v42, 0xb846, v44
	v_mul_f16_e32 v44, 0xbb00, v10
	v_add_f16_e32 v8, v8, v32
	v_add_f16_e32 v36, v36, v32
	;; [unrolled: 1-line block ×3, first 2 shown]
	v_fma_f16 v10, v10, 0x3b00, -v42
	v_fmac_f16_e32 v44, 0xb574, v40
	v_fmamk_f16 v40, v40, 0x3574, v42
	v_sub_f16_e32 v34, v5, v7
	v_add_f16_e32 v5, v7, v5
	v_fmac_f16_e32 v10, 0x370e, v6
	v_fmac_f16_e32 v44, 0x370e, v6
	;; [unrolled: 1-line block ×3, first 2 shown]
	v_sub_f16_e32 v6, v9, v11
	s_delay_alu instid0(VALU_DEP_4) | instskip(SKIP_2) | instid1(VALU_DEP_3)
	v_sub_f16_e32 v7, v32, v10
	v_add_f16_e32 v10, v10, v32
	v_sub_f16_e32 v32, v35, v26
	v_pack_b32_f16 v1, v5, v7
	v_add_f16_e32 v7, v40, v36
	s_delay_alu instid0(VALU_DEP_4) | instskip(SKIP_1) | instid1(VALU_DEP_3)
	v_pack_b32_f16 v5, v34, v10
	v_add_f16_e32 v10, v44, v8
	v_pack_b32_f16 v6, v6, v7
	v_sub_f16_e32 v7, v3, v43
	s_delay_alu instid0(VALU_DEP_1) | instskip(SKIP_1) | instid1(VALU_DEP_1)
	v_pack_b32_f16 v7, v7, v10
	v_mul_u32_u24_e32 v10, 7, v52
	v_lshlrev_b32_e32 v229, 2, v10
	ds_store_2addr_b32 v229, v5, v1 offset0:3 offset1:4
	ds_store_2addr_b32 v229, v7, v6 offset0:5 offset1:6
	v_add_f16_e32 v1, v43, v3
	v_sub_f16_e32 v3, v8, v44
	v_add_f16_e32 v5, v9, v11
	v_sub_f16_e32 v6, v36, v40
	v_lshrrev_b32_e32 v7, 16, v30
	v_lshrrev_b32_e32 v11, 16, v28
	v_pack_b32_f16 v1, v1, v3
	v_add_f16_e32 v9, v37, v28
	v_pack_b32_f16 v3, v5, v6
	v_or_b32_e32 v5, v39, v46
	v_sub_f16_e32 v6, v30, v56
	v_sub_f16_e32 v10, v37, v28
	ds_store_2addr_b32 v229, v3, v1 offset0:1 offset1:2
	ds_store_b32 v229, v5
	v_lshrrev_b32_e32 v1, 16, v56
	v_add_f16_e32 v3, v30, v56
	v_add_f16_e32 v30, v26, v35
	v_lshrrev_b32_e32 v26, 16, v26
	v_sub_f16_e32 v39, v32, v10
	v_add_f16_e32 v8, v7, v1
	v_sub_f16_e32 v1, v7, v1
	v_lshrrev_b32_e32 v7, 16, v37
	v_add_f16_e32 v37, v32, v10
	v_sub_f16_e32 v32, v6, v32
	v_sub_f16_e32 v10, v10, v6
	v_add_co_u32 v56, null, 0x126, v176
	v_add_f16_e32 v28, v7, v11
	v_sub_f16_e32 v7, v7, v11
	v_lshrrev_b32_e32 v11, 16, v35
	v_sub_f16_e32 v35, v9, v3
	v_add_f16_e32 v6, v37, v6
	v_sub_f16_e32 v36, v28, v8
	v_and_b32_e32 v58, 0xffff, v56
	v_add_f16_e32 v34, v26, v11
	v_sub_f16_e32 v11, v11, v26
	v_add_f16_e32 v26, v9, v3
	v_sub_f16_e32 v3, v3, v30
	v_sub_f16_e32 v9, v30, v9
	s_delay_alu instid0(VALU_DEP_4) | instskip(NEXT) | instid1(VALU_DEP_4)
	v_add_f16_e32 v37, v11, v7
	v_add_f16_e32 v26, v30, v26
	v_add_f16_e32 v30, v28, v8
	v_sub_f16_e32 v8, v8, v34
	v_sub_f16_e32 v28, v34, v28
	;; [unrolled: 1-line block ×4, first 2 shown]
	v_add_f16_e32 v30, v34, v30
	v_lshrrev_b32_e32 v34, 16, v33
	v_add_f16_e32 v33, v26, v33
	v_sub_f16_e32 v7, v7, v1
	v_add_f16_e32 v1, v37, v1
	v_mul_f16_e32 v3, 0x3a52, v3
	v_mul_f16_e32 v5, 0x2b26, v9
	v_and_b32_e32 v37, 0xffff, v33
	v_fmac_f16_e32 v33, 0xbcab, v26
	v_add_f16_e32 v26, v30, v34
	v_fmamk_f16 v9, v9, 0x2b26, v3
	v_fma_f16 v3, v35, 0xb9e0, -v3
	v_fma_f16 v5, v35, 0x39e0, -v5
	v_mul_f16_e32 v35, 0xbb00, v7
	v_lshlrev_b32_e32 v34, 16, v26
	v_fmac_f16_e32 v26, 0xbcab, v30
	v_mul_f16_e32 v30, 0xb846, v40
	v_mul_f16_e32 v8, 0x3a52, v8
	v_fmac_f16_e32 v35, 0xb574, v11
	v_add_f16_e32 v5, v5, v33
	v_add_f16_e32 v9, v9, v33
	v_fmamk_f16 v11, v11, 0x3574, v30
	v_fma_f16 v7, v7, 0x3b00, -v30
	v_mul_f16_e32 v30, 0x2b26, v28
	v_fmamk_f16 v28, v28, 0x2b26, v8
	v_fma_f16 v8, v36, 0xb9e0, -v8
	v_fmac_f16_e32 v11, 0x370e, v1
	v_fmac_f16_e32 v7, 0x370e, v1
	v_fma_f16 v30, v36, 0x39e0, -v30
	v_mul_f16_e32 v36, 0xb846, v39
	v_mul_f16_e32 v39, 0xbb00, v10
	v_add_f16_e32 v8, v8, v26
	v_add_f16_e32 v28, v28, v26
	;; [unrolled: 1-line block ×3, first 2 shown]
	v_fma_f16 v10, v10, 0x3b00, -v36
	v_fmac_f16_e32 v39, 0xb574, v32
	v_fmamk_f16 v32, v32, 0x3574, v36
	v_sub_f16_e32 v30, v5, v7
	v_add_f16_e32 v5, v7, v5
	v_fmac_f16_e32 v10, 0x370e, v6
	v_add_f16_e32 v3, v3, v33
	v_fmac_f16_e32 v32, 0x370e, v6
	v_fmac_f16_e32 v35, 0x370e, v1
	;; [unrolled: 1-line block ×3, first 2 shown]
	v_sub_f16_e32 v7, v26, v10
	v_add_f16_e32 v10, v10, v26
	v_sub_f16_e32 v6, v9, v11
	v_sub_f16_e32 v26, v20, v27
	s_delay_alu instid0(VALU_DEP_4) | instskip(SKIP_3) | instid1(VALU_DEP_3)
	v_pack_b32_f16 v1, v5, v7
	v_add_f16_e32 v7, v32, v28
	v_pack_b32_f16 v5, v30, v10
	v_add_f16_e32 v10, v39, v8
	v_pack_b32_f16 v6, v6, v7
	v_sub_f16_e32 v7, v3, v35
	s_delay_alu instid0(VALU_DEP_1) | instskip(SKIP_1) | instid1(VALU_DEP_1)
	v_pack_b32_f16 v7, v7, v10
	v_mul_u32_u24_e32 v10, 7, v53
	v_lshlrev_b32_e32 v218, 2, v10
	ds_store_2addr_b32 v218, v5, v1 offset0:3 offset1:4
	ds_store_2addr_b32 v218, v7, v6 offset0:5 offset1:6
	v_add_f16_e32 v1, v35, v3
	v_sub_f16_e32 v3, v8, v39
	v_add_f16_e32 v5, v9, v11
	v_sub_f16_e32 v6, v28, v32
	v_lshrrev_b32_e32 v7, 16, v24
	v_lshrrev_b32_e32 v11, 16, v22
	v_pack_b32_f16 v1, v1, v3
	v_add_f16_e32 v9, v22, v29
	v_pack_b32_f16 v3, v5, v6
	v_or_b32_e32 v5, v34, v37
	v_sub_f16_e32 v6, v31, v24
	v_sub_f16_e32 v10, v22, v29
	ds_store_2addr_b32 v218, v3, v1 offset0:1 offset1:2
	ds_store_b32 v218, v5
	v_lshrrev_b32_e32 v1, 16, v31
	v_add_f16_e32 v3, v31, v24
	v_add_f16_e32 v24, v27, v20
	v_lshrrev_b32_e32 v20, 16, v20
	v_sub_f16_e32 v30, v26, v10
	v_add_f16_e32 v8, v1, v7
	v_sub_f16_e32 v1, v1, v7
	v_lshrrev_b32_e32 v7, 16, v29
	v_sub_f16_e32 v28, v9, v3
	s_delay_alu instid0(VALU_DEP_2) | instskip(SKIP_2) | instid1(VALU_DEP_3)
	v_add_f16_e32 v22, v11, v7
	v_sub_f16_e32 v7, v11, v7
	v_lshrrev_b32_e32 v11, 16, v27
	v_sub_f16_e32 v29, v22, v8
	s_delay_alu instid0(VALU_DEP_2) | instskip(SKIP_4) | instid1(VALU_DEP_4)
	v_add_f16_e32 v27, v11, v20
	v_sub_f16_e32 v11, v20, v11
	v_add_f16_e32 v20, v9, v3
	v_sub_f16_e32 v3, v3, v24
	v_sub_f16_e32 v9, v24, v9
	;; [unrolled: 1-line block ×3, first 2 shown]
	s_delay_alu instid0(VALU_DEP_4)
	v_add_f16_e32 v20, v24, v20
	v_add_f16_e32 v24, v22, v8
	v_sub_f16_e32 v8, v8, v27
	v_sub_f16_e32 v22, v27, v22
	v_mul_f16_e32 v3, 0x3a52, v3
	v_mul_f16_e32 v5, 0x2b26, v9
	v_add_f16_e32 v24, v27, v24
	v_add_f16_e32 v27, v26, v10
	v_sub_f16_e32 v26, v6, v26
	v_sub_f16_e32 v10, v10, v6
	v_fmamk_f16 v9, v9, 0x2b26, v3
	v_fma_f16 v3, v28, 0xb9e0, -v3
	v_add_f16_e32 v6, v27, v6
	v_add_f16_e32 v27, v11, v7
	v_sub_f16_e32 v11, v1, v11
	v_sub_f16_e32 v7, v7, v1
	v_fma_f16 v5, v28, 0x39e0, -v5
	v_mul_f16_e32 v8, 0x3a52, v8
	v_add_f16_e32 v1, v27, v1
	v_add_f16_e32 v27, v20, v18
	v_lshrrev_b32_e32 v18, 16, v18
	v_mul_f16_e32 v28, 0xbb00, v7
	s_delay_alu instid0(VALU_DEP_3) | instskip(NEXT) | instid1(VALU_DEP_3)
	v_and_b32_e32 v32, 0xffff, v27
	v_add_f16_e32 v18, v24, v18
	v_fmac_f16_e32 v27, 0xbcab, v20
	s_delay_alu instid0(VALU_DEP_4) | instskip(NEXT) | instid1(VALU_DEP_3)
	v_fmac_f16_e32 v28, 0xb574, v11
	v_lshlrev_b32_e32 v20, 16, v18
	v_fmac_f16_e32 v18, 0xbcab, v24
	v_mul_f16_e32 v24, 0xb846, v31
	v_add_f16_e32 v5, v5, v27
	v_add_f16_e32 v9, v9, v27
	v_add_f16_e32 v3, v3, v27
	v_fmac_f16_e32 v28, 0x370e, v1
	v_fmamk_f16 v11, v11, 0x3574, v24
	v_fma_f16 v7, v7, 0x3b00, -v24
	v_mul_f16_e32 v24, 0x2b26, v22
	v_fmamk_f16 v22, v22, 0x2b26, v8
	v_fma_f16 v8, v29, 0xb9e0, -v8
	v_fmac_f16_e32 v11, 0x370e, v1
	v_fmac_f16_e32 v7, 0x370e, v1
	v_fma_f16 v24, v29, 0x39e0, -v24
	v_mul_f16_e32 v29, 0xb846, v30
	v_mul_f16_e32 v30, 0xbb00, v10
	v_add_f16_e32 v8, v8, v18
	v_add_f16_e32 v22, v22, v18
	;; [unrolled: 1-line block ×3, first 2 shown]
	v_fma_f16 v10, v10, 0x3b00, -v29
	v_fmac_f16_e32 v30, 0xb574, v26
	v_fmamk_f16 v26, v26, 0x3574, v29
	v_sub_f16_e32 v24, v5, v7
	v_add_f16_e32 v5, v7, v5
	v_fmac_f16_e32 v10, 0x370e, v6
	v_fmac_f16_e32 v30, 0x370e, v6
	;; [unrolled: 1-line block ×3, first 2 shown]
	v_sub_f16_e32 v6, v9, v11
	s_delay_alu instid0(VALU_DEP_4) | instskip(SKIP_2) | instid1(VALU_DEP_3)
	v_sub_f16_e32 v7, v18, v10
	v_add_f16_e32 v10, v10, v18
	v_sub_f16_e32 v18, v21, v14
	v_pack_b32_f16 v1, v5, v7
	v_add_f16_e32 v7, v26, v22
	s_delay_alu instid0(VALU_DEP_4) | instskip(SKIP_1) | instid1(VALU_DEP_3)
	v_pack_b32_f16 v5, v24, v10
	v_add_f16_e32 v10, v30, v8
	v_pack_b32_f16 v6, v6, v7
	v_sub_f16_e32 v7, v3, v28
	s_delay_alu instid0(VALU_DEP_1) | instskip(SKIP_1) | instid1(VALU_DEP_1)
	v_pack_b32_f16 v7, v7, v10
	v_mul_u32_u24_e32 v10, 7, v54
	v_lshlrev_b32_e32 v206, 2, v10
	ds_store_2addr_b32 v206, v5, v1 offset0:3 offset1:4
	ds_store_2addr_b32 v206, v7, v6 offset0:5 offset1:6
	v_add_f16_e32 v1, v28, v3
	v_sub_f16_e32 v3, v8, v30
	v_add_f16_e32 v5, v9, v11
	v_sub_f16_e32 v6, v22, v26
	v_lshrrev_b32_e32 v7, 16, v25
	v_lshrrev_b32_e32 v10, 16, v12
	v_pack_b32_f16 v1, v1, v3
	v_add_f16_e32 v8, v12, v25
	v_pack_b32_f16 v3, v5, v6
	v_or_b32_e32 v5, v20, v32
	v_add_f16_e32 v11, v10, v7
	v_sub_f16_e32 v7, v10, v7
	v_lshrrev_b32_e32 v10, 16, v16
	ds_store_2addr_b32 v206, v3, v1 offset0:1 offset1:2
	ds_store_b32 v206, v5
	v_lshrrev_b32_e32 v1, 16, v23
	v_add_f16_e32 v3, v23, v16
	v_sub_f16_e32 v6, v23, v16
	v_sub_f16_e32 v9, v12, v25
	v_add_f16_e32 v16, v14, v21
	v_add_f16_e32 v12, v1, v10
	v_sub_f16_e32 v1, v1, v10
	v_lshrrev_b32_e32 v10, 16, v21
	v_lshrrev_b32_e32 v14, 16, v14
	v_sub_f16_e32 v21, v3, v8
	v_sub_f16_e32 v22, v12, v11
	;; [unrolled: 1-line block ×3, first 2 shown]
	s_delay_alu instid0(VALU_DEP_4) | instskip(SKIP_4) | instid1(VALU_DEP_4)
	v_add_f16_e32 v20, v14, v10
	v_sub_f16_e32 v10, v10, v14
	v_add_f16_e32 v14, v3, v8
	v_sub_f16_e32 v8, v8, v16
	v_sub_f16_e32 v3, v16, v3
	v_add_f16_e32 v24, v10, v1
	s_delay_alu instid0(VALU_DEP_4)
	v_add_f16_e32 v14, v16, v14
	v_add_f16_e32 v16, v12, v11
	v_sub_f16_e32 v11, v11, v20
	v_sub_f16_e32 v12, v20, v12
	;; [unrolled: 1-line block ×4, first 2 shown]
	v_add_f16_e32 v16, v20, v16
	v_add_f16_e32 v20, v18, v6
	v_sub_f16_e32 v18, v9, v18
	v_sub_f16_e32 v6, v6, v9
	;; [unrolled: 1-line block ×3, first 2 shown]
	v_add_f16_e32 v7, v24, v7
	v_add_f16_e32 v9, v20, v9
	v_lshrrev_b32_e32 v20, 16, v19
	v_add_f16_e32 v19, v14, v19
	v_mul_f16_e32 v5, 0x3a52, v8
	v_mul_f16_e32 v8, 0x2b26, v3
	;; [unrolled: 1-line block ×3, first 2 shown]
	s_delay_alu instid0(VALU_DEP_4)
	v_and_b32_e32 v24, 0xffff, v19
	v_fmac_f16_e32 v19, 0xbcab, v14
	v_add_f16_e32 v14, v16, v20
	v_fmamk_f16 v3, v3, 0x2b26, v5
	v_fma_f16 v5, v21, 0xb9e0, -v5
	v_fma_f16 v8, v21, 0x39e0, -v8
	v_mul_f16_e32 v21, 0xbb00, v1
	v_lshlrev_b32_e32 v20, 16, v14
	v_fmac_f16_e32 v14, 0xbcab, v16
	v_mul_f16_e32 v16, 0xb846, v25
	v_add_f16_e32 v8, v8, v19
	v_fmac_f16_e32 v21, 0xb574, v10
	v_add_f16_e32 v3, v3, v19
	v_add_f16_e32 v5, v5, v19
	v_fmamk_f16 v10, v10, 0x3574, v16
	v_fma_f16 v1, v1, 0x3b00, -v16
	v_mul_f16_e32 v16, 0x2b26, v12
	v_fmamk_f16 v12, v12, 0x2b26, v11
	v_fma_f16 v11, v22, 0xb9e0, -v11
	v_fmac_f16_e32 v10, 0x370e, v7
	v_fmac_f16_e32 v1, 0x370e, v7
	v_fma_f16 v16, v22, 0x39e0, -v16
	v_mul_f16_e32 v22, 0xb846, v23
	v_mul_f16_e32 v23, 0xbb00, v6
	v_add_f16_e32 v11, v11, v14
	v_add_f16_e32 v12, v12, v14
	;; [unrolled: 1-line block ×3, first 2 shown]
	v_fma_f16 v6, v6, 0x3b00, -v22
	v_fmac_f16_e32 v23, 0xb574, v18
	v_fmamk_f16 v18, v18, 0x3574, v22
	v_sub_f16_e32 v16, v8, v1
	v_add_f16_e32 v1, v1, v8
	v_fmac_f16_e32 v6, 0x370e, v9
	v_fmac_f16_e32 v21, 0x370e, v7
	v_fmac_f16_e32 v18, 0x370e, v9
	v_fmac_f16_e32 v23, 0x370e, v9
	v_sub_f16_e32 v7, v3, v10
	v_sub_f16_e32 v8, v14, v6
	v_add_f16_e32 v6, v6, v14
	v_add_f16_e32 v3, v3, v10
	;; [unrolled: 1-line block ×3, first 2 shown]
	v_lshrrev_b32_e32 v10, 16, v13
	v_pack_b32_f16 v1, v1, v8
	v_add_f16_e32 v8, v18, v12
	v_pack_b32_f16 v6, v16, v6
	s_delay_alu instid0(VALU_DEP_2) | instskip(SKIP_1) | instid1(VALU_DEP_1)
	v_pack_b32_f16 v7, v7, v8
	v_sub_f16_e32 v8, v5, v21
	v_pack_b32_f16 v8, v8, v9
	v_mul_u32_u24_e32 v9, 7, v55
	s_delay_alu instid0(VALU_DEP_1)
	v_lshlrev_b32_e32 v201, 2, v9
	ds_store_2addr_b32 v201, v6, v1 offset0:3 offset1:4
	ds_store_2addr_b32 v201, v8, v7 offset0:5 offset1:6
	v_add_f16_e32 v1, v21, v5
	v_sub_f16_e32 v5, v11, v23
	v_sub_f16_e32 v6, v12, v18
	v_lshrrev_b32_e32 v7, 16, v15
	v_add_f16_e32 v8, v15, v2
	v_sub_f16_e32 v9, v2, v15
	v_pack_b32_f16 v1, v1, v5
	v_pack_b32_f16 v3, v3, v6
	v_or_b32_e32 v5, v20, v24
	v_lshrrev_b32_e32 v6, 16, v17
	v_lshrrev_b32_e32 v2, 16, v2
	v_add_f16_e32 v11, v13, v48
	ds_store_2addr_b32 v201, v3, v1 offset0:1 offset1:2
	ds_store_b32 v201, v5
	v_lshrrev_b32_e32 v1, 16, v4
	v_add_f16_e32 v3, v4, v17
	v_sub_f16_e32 v12, v13, v48
	v_lshrrev_b32_e32 v13, 16, v48
	v_sub_f16_e32 v4, v4, v17
	s_delay_alu instid0(VALU_DEP_4) | instskip(NEXT) | instid1(VALU_DEP_3)
	v_sub_f16_e32 v15, v3, v11
	v_add_f16_e32 v14, v10, v13
	v_sub_f16_e32 v10, v10, v13
	v_add_f16_e32 v13, v1, v6
	;; [unrolled: 2-line block ×4, first 2 shown]
	v_sub_f16_e32 v11, v11, v8
	v_sub_f16_e32 v3, v8, v3
	;; [unrolled: 1-line block ×4, first 2 shown]
	v_add_f16_e32 v7, v8, v7
	v_add_f16_e32 v8, v13, v14
	v_sub_f16_e32 v14, v14, v6
	v_sub_f16_e32 v13, v6, v13
	v_add_f16_e32 v18, v2, v1
	v_sub_f16_e32 v19, v2, v1
	v_add_f16_e32 v6, v6, v8
	v_add_f16_e32 v8, v9, v4
	v_sub_f16_e32 v9, v12, v9
	v_sub_f16_e32 v4, v4, v12
	;; [unrolled: 1-line block ×4, first 2 shown]
	v_add_f16_e32 v8, v8, v12
	v_lshrrev_b32_e32 v12, 16, v0
	v_add_f16_e32 v0, v7, v0
	v_add_f16_e32 v10, v18, v10
	v_mul_f16_e32 v5, 0x3a52, v11
	v_mul_f16_e32 v11, 0xb846, v19
	s_delay_alu instid0(VALU_DEP_4) | instskip(SKIP_2) | instid1(VALU_DEP_1)
	v_and_b32_e32 v18, 0xffff, v0
	v_fmac_f16_e32 v0, 0xbcab, v7
	v_add_f16_e32 v7, v6, v12
	v_lshlrev_b32_e32 v12, 16, v7
	v_fmac_f16_e32 v7, 0xbcab, v6
	v_mul_f16_e32 v6, 0x2b26, v3
	v_fmamk_f16 v3, v3, 0x2b26, v5
	v_fma_f16 v5, v15, 0xb9e0, -v5
	s_delay_alu instid0(VALU_DEP_3) | instskip(SKIP_2) | instid1(VALU_DEP_4)
	v_fma_f16 v6, v15, 0x39e0, -v6
	v_mul_f16_e32 v15, 0xbb00, v1
	v_fma_f16 v1, v1, 0x3b00, -v11
	v_add_f16_e32 v5, v5, v0
	v_add_f16_e32 v3, v3, v0
	;; [unrolled: 1-line block ×3, first 2 shown]
	v_fmac_f16_e32 v15, 0xb574, v2
	v_fmamk_f16 v2, v2, 0x3574, v11
	v_mul_f16_e32 v11, 0x3a52, v14
	v_mul_f16_e32 v14, 0x2b26, v13
	v_fmac_f16_e32 v1, 0x370e, v10
	v_fmac_f16_e32 v15, 0x370e, v10
	;; [unrolled: 1-line block ×3, first 2 shown]
	v_fmamk_f16 v13, v13, 0x2b26, v11
	v_fma_f16 v11, v16, 0xb9e0, -v11
	v_fma_f16 v14, v16, 0x39e0, -v14
	v_mul_f16_e32 v16, 0xb846, v17
	v_mul_f16_e32 v17, 0xbb00, v4
	s_delay_alu instid0(VALU_DEP_4) | instskip(SKIP_1) | instid1(VALU_DEP_4)
	v_add_f16_e32 v6, v11, v7
	v_add_f16_e32 v11, v13, v7
	v_fma_f16 v4, v4, 0x3b00, -v16
	s_delay_alu instid0(VALU_DEP_4)
	v_fmac_f16_e32 v17, 0xb574, v9
	v_fmamk_f16 v9, v9, 0x3574, v16
	v_add_f16_e32 v7, v14, v7
	v_sub_f16_e32 v13, v0, v1
	v_fmac_f16_e32 v4, 0x370e, v8
	v_add_f16_e32 v0, v1, v0
	v_fmac_f16_e32 v9, 0x370e, v8
	v_fmac_f16_e32 v17, 0x370e, v8
	s_delay_alu instid0(VALU_DEP_4) | instskip(SKIP_1) | instid1(VALU_DEP_4)
	v_sub_f16_e32 v1, v7, v4
	v_add_f16_e32 v4, v4, v7
	v_add_f16_e32 v7, v9, v11
	s_delay_alu instid0(VALU_DEP_4) | instskip(NEXT) | instid1(VALU_DEP_4)
	v_add_f16_e32 v8, v17, v6
	v_pack_b32_f16 v0, v0, v1
	s_delay_alu instid0(VALU_DEP_4) | instskip(SKIP_3) | instid1(VALU_DEP_3)
	v_pack_b32_f16 v1, v13, v4
	v_sub_f16_e32 v4, v3, v2
	v_add_f16_e32 v2, v3, v2
	v_sub_f16_e32 v3, v11, v9
	v_pack_b32_f16 v4, v4, v7
	v_sub_f16_e32 v7, v5, v15
	s_delay_alu instid0(VALU_DEP_1) | instskip(SKIP_1) | instid1(VALU_DEP_1)
	v_pack_b32_f16 v7, v7, v8
	v_mul_u32_u24_e32 v8, 7, v56
	v_lshlrev_b32_e32 v198, 2, v8
	ds_store_2addr_b32 v198, v1, v0 offset0:3 offset1:4
	ds_store_2addr_b32 v198, v7, v4 offset0:5 offset1:6
	v_add_f16_e32 v0, v15, v5
	v_sub_f16_e32 v1, v6, v17
	s_delay_alu instid0(VALU_DEP_1)
	v_pack_b32_f16 v0, v0, v1
	v_pack_b32_f16 v1, v2, v3
	v_or_b32_e32 v2, v12, v18
	ds_store_2addr_b32 v198, v1, v0 offset0:1 offset1:2
	ds_store_b32 v198, v2
	v_and_b32_e32 v0, 0xff, v38
	global_wb scope:SCOPE_SE
	s_wait_dscnt 0x0
	s_barrier_signal -1
	s_barrier_wait -1
	global_inv scope:SCOPE_SE
	v_mul_lo_u16 v0, v0, 37
	s_delay_alu instid0(VALU_DEP_1) | instskip(NEXT) | instid1(VALU_DEP_1)
	v_lshrrev_b16 v0, 8, v0
	v_sub_nc_u16 v1, v38, v0
	s_delay_alu instid0(VALU_DEP_1) | instskip(NEXT) | instid1(VALU_DEP_1)
	v_lshrrev_b16 v1, 1, v1
	v_and_b32_e32 v1, 0x7f, v1
	s_delay_alu instid0(VALU_DEP_1) | instskip(SKIP_1) | instid1(VALU_DEP_2)
	v_add_nc_u16 v0, v1, v0
	v_and_b32_e32 v1, 0xff, v78
	v_lshrrev_b16 v14, 2, v0
	s_delay_alu instid0(VALU_DEP_2) | instskip(NEXT) | instid1(VALU_DEP_2)
	v_mul_lo_u16 v1, v1, 37
	v_mul_lo_u16 v0, v14, 7
	s_delay_alu instid0(VALU_DEP_2) | instskip(NEXT) | instid1(VALU_DEP_2)
	v_lshrrev_b16 v1, 8, v1
	v_sub_nc_u16 v0, v38, v0
	s_delay_alu instid0(VALU_DEP_2) | instskip(NEXT) | instid1(VALU_DEP_2)
	v_sub_nc_u16 v2, v78, v1
	v_and_b32_e32 v21, 0xff, v0
	s_delay_alu instid0(VALU_DEP_2) | instskip(NEXT) | instid1(VALU_DEP_2)
	v_lshrrev_b16 v2, 1, v2
	v_mul_u32_u24_e32 v0, 6, v21
	s_delay_alu instid0(VALU_DEP_2) | instskip(NEXT) | instid1(VALU_DEP_2)
	v_and_b32_e32 v2, 0x7f, v2
	v_lshlrev_b32_e32 v0, 2, v0
	s_clause 0x1
	global_load_b64 v[232:233], v0, s[6:7] offset:16
	global_load_b128 v[235:238], v0, s[6:7]
	v_add_nc_u16 v15, v2, v1
	v_mul_lo_u16 v1, v57, 37
	ds_load_2addr_b32 v[4:5], v252 offset0:38 offset1:87
	ds_load_2addr_b32 v[7:8], v187 offset0:10 offset1:59
	;; [unrolled: 1-line block ×4, first 2 shown]
	v_lshrrev_b16 v1, 8, v1
	v_lshrrev_b16 v121, 2, v15
	s_delay_alu instid0(VALU_DEP_2) | instskip(NEXT) | instid1(VALU_DEP_1)
	v_sub_nc_u16 v2, v52, v1
	v_lshrrev_b16 v2, 1, v2
	s_delay_alu instid0(VALU_DEP_1) | instskip(SKIP_2) | instid1(VALU_DEP_2)
	v_and_b32_e32 v2, 0x7f, v2
	s_wait_dscnt 0x3
	v_lshrrev_b32_e32 v0, 16, v5
	v_add_nc_u16 v16, v2, v1
	v_mul_lo_u16 v1, v61, 37
	s_delay_alu instid0(VALU_DEP_2) | instskip(NEXT) | instid1(VALU_DEP_2)
	v_lshrrev_b16 v16, 2, v16
	v_lshrrev_b16 v1, 8, v1
	s_delay_alu instid0(VALU_DEP_1) | instskip(NEXT) | instid1(VALU_DEP_1)
	v_sub_nc_u16 v2, v53, v1
	v_lshrrev_b16 v2, 1, v2
	s_delay_alu instid0(VALU_DEP_1) | instskip(NEXT) | instid1(VALU_DEP_1)
	v_and_b32_e32 v2, 0x7f, v2
	v_add_nc_u16 v17, v2, v1
	v_mul_lo_u16 v1, v60, 37
	s_delay_alu instid0(VALU_DEP_2) | instskip(NEXT) | instid1(VALU_DEP_2)
	v_lshrrev_b16 v17, 2, v17
	v_lshrrev_b16 v1, 8, v1
	s_delay_alu instid0(VALU_DEP_1) | instskip(NEXT) | instid1(VALU_DEP_1)
	v_sub_nc_u16 v2, v54, v1
	v_lshrrev_b16 v2, 1, v2
	s_delay_alu instid0(VALU_DEP_1) | instskip(NEXT) | instid1(VALU_DEP_1)
	v_and_b32_e32 v2, 0x7f, v2
	v_add_nc_u16 v18, v2, v1
	v_mul_u32_u24_e32 v1, 0x2493, v59
	s_delay_alu instid0(VALU_DEP_1) | instskip(NEXT) | instid1(VALU_DEP_1)
	v_lshrrev_b32_e32 v1, 16, v1
	v_sub_nc_u16 v2, v55, v1
	s_delay_alu instid0(VALU_DEP_1) | instskip(NEXT) | instid1(VALU_DEP_1)
	v_lshrrev_b16 v2, 1, v2
	v_add_nc_u16 v19, v2, v1
	v_mul_u32_u24_e32 v1, 0x2493, v58
	s_delay_alu instid0(VALU_DEP_2) | instskip(NEXT) | instid1(VALU_DEP_2)
	v_lshrrev_b16 v72, 2, v19
	v_lshrrev_b32_e32 v1, 16, v1
	s_delay_alu instid0(VALU_DEP_1) | instskip(NEXT) | instid1(VALU_DEP_1)
	v_sub_nc_u16 v2, v56, v1
	v_lshrrev_b16 v2, 1, v2
	s_delay_alu instid0(VALU_DEP_1)
	v_add_nc_u16 v20, v2, v1
	s_wait_loadcnt 0x1
	v_lshrrev_b32_e32 v6, 16, v233
	s_wait_loadcnt 0x0
	v_lshrrev_b32_e32 v2, 16, v235
	s_wait_dscnt 0x2
	s_delay_alu instid0(VALU_DEP_2) | instskip(NEXT) | instid1(VALU_DEP_2)
	v_mul_f16_e32 v3, v7, v6
	v_mul_f16_e32 v1, v5, v2
	s_delay_alu instid0(VALU_DEP_1) | instskip(SKIP_2) | instid1(VALU_DEP_2)
	v_fmac_f16_e64 v1, v0, v235
	v_mul_f16_e32 v0, v0, v2
	v_lshrrev_b32_e32 v2, 16, v7
	v_fma_f16 v0, v5, v235, -v0
	s_delay_alu instid0(VALU_DEP_2)
	v_fmac_f16_e64 v3, v2, v233
	v_mul_f16_e32 v2, v2, v6
	ds_load_2addr_b32 v[5:6], v194 offset0:130 offset1:179
	v_add_f16_e32 v65, v1, v3
	v_fma_f16 v2, v7, v233, -v2
	v_sub_f16_e32 v64, v1, v3
	v_lshrrev_b32_e32 v7, 16, v232
	s_delay_alu instid0(VALU_DEP_3) | instskip(SKIP_4) | instid1(VALU_DEP_2)
	v_add_f16_e32 v62, v0, v2
	v_sub_f16_e32 v63, v0, v2
	v_lshrrev_b32_e32 v2, 16, v236
	s_wait_dscnt 0x2
	v_lshrrev_b32_e32 v0, 16, v9
	v_mul_f16_e32 v1, v9, v2
	s_wait_dscnt 0x0
	v_mul_f16_e32 v3, v6, v7
	s_delay_alu instid0(VALU_DEP_2) | instskip(SKIP_2) | instid1(VALU_DEP_2)
	v_fmac_f16_e64 v1, v0, v236
	v_mul_f16_e32 v0, v0, v2
	v_lshrrev_b32_e32 v2, 16, v6
	v_fma_f16 v0, v9, v236, -v0
	s_delay_alu instid0(VALU_DEP_2) | instskip(SKIP_2) | instid1(VALU_DEP_3)
	v_fmac_f16_e64 v3, v2, v232
	v_mul_f16_e32 v2, v2, v7
	v_lshrrev_b32_e32 v9, 16, v238
	v_add_f16_e32 v69, v1, v3
	s_delay_alu instid0(VALU_DEP_3)
	v_fma_f16 v2, v6, v232, -v2
	ds_load_2addr_b32 v[6:7], v94 offset0:84 offset1:133
	v_sub_f16_e32 v68, v1, v3
	v_lshrrev_b32_e32 v1, 16, v237
	v_mul_f16_e32 v3, v12, v9
	v_add_f16_e32 v66, v0, v2
	v_sub_f16_e32 v67, v0, v2
	s_wait_dscnt 0x0
	v_lshrrev_b32_e32 v0, 16, v7
	v_mul_f16_e32 v2, v7, v1
	s_delay_alu instid0(VALU_DEP_1) | instskip(SKIP_2) | instid1(VALU_DEP_2)
	v_fmac_f16_e64 v2, v0, v237
	v_mul_f16_e32 v0, v0, v1
	v_lshrrev_b32_e32 v1, 16, v12
	v_fma_f16 v7, v7, v237, -v0
	s_delay_alu instid0(VALU_DEP_2) | instskip(SKIP_1) | instid1(VALU_DEP_1)
	v_fmac_f16_e64 v3, v1, v238
	v_mul_f16_e32 v1, v1, v9
	v_fma_f16 v1, v12, v238, -v1
	ds_load_2addr_b32 v[11:12], v152 offset1:49
	v_add_f16_e32 v0, v7, v1
	v_sub_f16_e32 v9, v1, v7
	v_add_f16_e32 v1, v2, v3
	v_sub_f16_e32 v7, v3, v2
	;; [unrolled: 2-line block ×3, first 2 shown]
	v_sub_f16_e32 v108, v63, v9
	v_sub_f16_e32 v107, v1, v69
	;; [unrolled: 1-line block ×3, first 2 shown]
	v_add_f16_e32 v3, v0, v2
	s_wait_dscnt 0x0
	s_delay_alu instid0(VALU_DEP_1) | instskip(NEXT) | instid1(VALU_DEP_1)
	v_add_f16_e32 v70, v3, v11
	v_and_b32_e32 v2, 0xffff, v70
	v_fmac_f16_e32 v70, 0xbcab, v3
	v_add_f16_e32 v3, v69, v65
	s_delay_alu instid0(VALU_DEP_1) | instskip(SKIP_2) | instid1(VALU_DEP_2)
	v_add_f16_e32 v22, v1, v3
	v_lshrrev_b32_e32 v3, 16, v11
	v_sub_f16_e32 v11, v7, v68
	v_add_f16_e32 v71, v22, v3
	s_delay_alu instid0(VALU_DEP_2) | instskip(NEXT) | instid1(VALU_DEP_2)
	v_mul_f16_e32 v114, 0xb846, v11
	v_lshlrev_b32_e32 v3, 16, v71
	v_fmac_f16_e32 v71, 0xbcab, v22
	s_delay_alu instid0(VALU_DEP_3) | instskip(NEXT) | instid1(VALU_DEP_3)
	v_fmamk_f16 v118, v109, 0x3574, v114
	v_or_b32_e32 v105, v3, v2
	v_and_b32_e32 v2, 0xffff, v14
	v_sub_f16_e32 v3, v9, v67
	s_delay_alu instid0(VALU_DEP_2) | instskip(NEXT) | instid1(VALU_DEP_2)
	v_mul_u32_u24_e32 v2, 49, v2
	v_mul_f16_e32 v113, 0xb846, v3
	s_delay_alu instid0(VALU_DEP_2)
	v_add_lshl_u32 v210, v2, v21, 2
	v_sub_f16_e32 v2, v62, v0
	v_sub_f16_e32 v0, v65, v1
	v_add_f16_e32 v1, v9, v67
	v_add_f16_e32 v9, v7, v68
	v_fmamk_f16 v119, v108, 0x3574, v113
	v_mul_f16_e32 v111, 0x3a52, v2
	v_mul_f16_e32 v112, 0x3a52, v0
	v_add_f16_e32 v110, v1, v63
	v_add_f16_e32 v115, v9, v64
	v_mul_lo_u16 v2, v17, 7
	v_fmamk_f16 v0, v106, 0x2b26, v111
	v_lshrrev_b16 v7, 2, v20
	v_fmac_f16_e32 v119, 0x370e, v110
	v_fmac_f16_e32 v118, 0x370e, v115
	v_sub_nc_u16 v2, v53, v2
	v_add_f16_e32 v116, v0, v70
	v_fmamk_f16 v0, v107, 0x2b26, v112
	v_sub_f16_e32 v63, v67, v63
	v_sub_f16_e32 v64, v68, v64
	v_and_b32_e32 v19, 0xff, v2
	v_mul_lo_u16 v2, v72, 7
	v_add_f16_e32 v117, v0, v71
	v_add_f16_e32 v0, v118, v116
	v_sub_f16_e32 v62, v66, v62
	v_sub_f16_e32 v65, v69, v65
	v_sub_nc_u16 v73, v55, v2
	v_sub_f16_e32 v1, v117, v119
	v_mul_lo_u16 v2, v7, 7
	v_mul_f16_e32 v66, 0x2b26, v106
	v_mul_f16_e32 v67, 0x2b26, v107
	v_fma_f16 v68, v63, 0x3b00, -v113
	v_pack_b32_f16 v120, v0, v1
	v_mul_lo_u16 v0, v121, 7
	v_mul_lo_u16 v1, v16, 7
	v_sub_nc_u16 v9, v56, v2
	v_mul_lo_u16 v2, v73, 6
	v_mul_f16_e32 v63, 0xbb00, v63
	v_sub_nc_u16 v0, v78, v0
	v_sub_nc_u16 v1, v52, v1
	v_fma_f16 v69, v64, 0x3b00, -v114
	v_and_b32_e32 v2, 0xffff, v2
	v_mul_f16_e32 v64, 0xbb00, v64
	v_and_b32_e32 v122, 0xff, v0
	v_fma_f16 v66, v62, 0x39e0, -v66
	v_fma_f16 v62, v62, 0xb9e0, -v111
	v_lshlrev_b32_e32 v89, 2, v2
	v_fma_f16 v67, v65, 0x39e0, -v67
	v_mul_u32_u24_e32 v0, 6, v122
	v_fma_f16 v65, v65, 0xb9e0, -v112
	v_fmac_f16_e32 v63, 0xb574, v108
	v_fmac_f16_e32 v64, 0xb574, v109
	v_add_f16_e32 v62, v62, v70
	v_lshlrev_b32_e32 v21, 2, v0
	v_lshrrev_b16 v0, 2, v18
	v_and_b32_e32 v18, 0xff, v1
	v_add_f16_e32 v65, v65, v71
	v_fmac_f16_e32 v63, 0x370e, v110
	v_fmac_f16_e32 v64, 0x370e, v115
	v_mul_lo_u16 v3, v0, 7
	v_mul_u32_u24_e32 v11, 6, v18
	v_add_f16_e32 v66, v66, v70
	v_add_f16_e32 v67, v67, v71
	v_fmac_f16_e32 v68, 0x370e, v110
	v_sub_nc_u16 v3, v54, v3
	v_lshlrev_b32_e32 v20, 2, v11
	v_mul_u32_u24_e32 v11, 6, v19
	v_fmac_f16_e32 v69, 0x370e, v115
	v_add_f16_e32 v70, v64, v62
	v_and_b32_e32 v1, 0xff, v3
	v_mul_lo_u16 v3, v9, 6
	v_lshlrev_b32_e32 v22, 2, v11
	v_sub_f16_e32 v71, v65, v63
	v_sub_f16_e32 v62, v62, v64
	v_mul_u32_u24_e32 v11, 6, v1
	v_and_b32_e32 v3, 0xffff, v3
	v_add_f16_e32 v63, v63, v65
	v_pack_b32_f16 v70, v70, v71
	v_sub_f16_e32 v71, v66, v69
	v_lshlrev_b32_e32 v23, 2, v11
	v_lshlrev_b32_e32 v90, 2, v3
	ds_load_b32 v11, v152 offset:9408
	ds_load_2addr_b32 v[2:3], v252 offset0:136 offset1:185
	ds_load_2addr_b32 v[74:75], v208 offset0:54 offset1:103
	;; [unrolled: 1-line block ×17, first 2 shown]
	s_clause 0xb
	global_load_b64 v[160:161], v20, s[6:7] offset:16
	global_load_b64 v[153:154], v22, s[6:7] offset:16
	;; [unrolled: 1-line block ×6, first 2 shown]
	global_load_b128 v[36:39], v21, s[6:7]
	global_load_b128 v[32:35], v20, s[6:7]
	;; [unrolled: 1-line block ×6, first 2 shown]
	global_wb scope:SCOPE_SE
	s_wait_loadcnt_dscnt 0x0
	s_barrier_signal -1
	s_barrier_wait -1
	global_inv scope:SCOPE_SE
	ds_store_2addr_b32 v210, v105, v120 offset1:7
	v_add_f16_e32 v105, v68, v67
	v_add_f16_e32 v66, v69, v66
	v_sub_f16_e32 v67, v67, v68
	v_pack_b32_f16 v62, v62, v63
	v_and_b32_e32 v0, 0xffff, v0
	v_pack_b32_f16 v71, v71, v105
	s_delay_alu instid0(VALU_DEP_4) | instskip(SKIP_1) | instid1(VALU_DEP_4)
	v_pack_b32_f16 v64, v66, v67
	v_lshrrev_b32_e32 v66, 16, v8
	v_mul_u32_u24_e32 v0, 49, v0
	ds_store_2addr_b32 v210, v70, v71 offset0:14 offset1:21
	ds_store_2addr_b32 v210, v64, v62 offset0:28 offset1:35
	v_lshrrev_b32_e32 v62, 16, v10
	v_lshrrev_b32_e32 v64, 16, v13
	v_add_lshl_u32 v163, v0, v1, 2
	v_lshrrev_b32_e32 v20, 16, v37
	s_delay_alu instid0(VALU_DEP_1) | instskip(SKIP_3) | instid1(VALU_DEP_4)
	v_mul_f16_e32 v63, v62, v20
	v_lshrrev_b32_e32 v225, 16, v89
	v_lshrrev_b32_e32 v227, 16, v90
	;; [unrolled: 1-line block ×3, first 2 shown]
	v_fma_f16 v63, v10, v37, -v63
	v_mul_f16_e32 v10, v10, v20
	v_lshrrev_b32_e32 v20, 16, v39
	s_delay_alu instid0(VALU_DEP_2) | instskip(NEXT) | instid1(VALU_DEP_2)
	v_fmac_f16_e32 v10, v62, v37
	v_mul_f16_e32 v65, v64, v20
	v_sub_f16_e32 v62, v116, v118
	s_delay_alu instid0(VALU_DEP_2) | instskip(SKIP_2) | instid1(VALU_DEP_2)
	v_fma_f16 v65, v13, v39, -v65
	v_mul_f16_e32 v13, v13, v20
	v_lshrrev_b32_e32 v20, 16, v100
	v_fmac_f16_e32 v13, v64, v39
	s_delay_alu instid0(VALU_DEP_2) | instskip(SKIP_1) | instid1(VALU_DEP_2)
	v_mul_f16_e32 v67, v66, v20
	v_add_f16_e32 v64, v119, v117
	v_fma_f16 v67, v8, v100, -v67
	v_mul_f16_e32 v8, v8, v20
	v_lshrrev_b32_e32 v20, 16, v36
	s_delay_alu instid0(VALU_DEP_4) | instskip(SKIP_1) | instid1(VALU_DEP_4)
	v_pack_b32_f16 v62, v62, v64
	v_and_b32_e32 v64, 0xffff, v121
	v_fmac_f16_e32 v8, v66, v100
	v_lshrrev_b32_e32 v66, 16, v2
	v_mul_f16_e32 v68, v2, v20
	s_delay_alu instid0(VALU_DEP_4) | instskip(NEXT) | instid1(VALU_DEP_2)
	v_mul_u32_u24_e32 v64, 49, v64
	v_fmac_f16_e32 v68, v66, v36
	v_mul_f16_e32 v66, v66, v20
	v_lshrrev_b32_e32 v20, 16, v99
	s_delay_alu instid0(VALU_DEP_4) | instskip(NEXT) | instid1(VALU_DEP_3)
	v_add_lshl_u32 v240, v64, v122, 2
	v_fma_f16 v2, v2, v36, -v66
	s_delay_alu instid0(VALU_DEP_3) | instskip(NEXT) | instid1(VALU_DEP_2)
	v_mul_f16_e32 v69, v76, v20
	v_add_f16_e32 v66, v2, v67
	v_sub_f16_e32 v2, v2, v67
	v_add_f16_e32 v67, v68, v8
	v_sub_f16_e32 v8, v68, v8
	v_lshrrev_b32_e32 v68, 16, v76
	s_delay_alu instid0(VALU_DEP_1) | instskip(SKIP_2) | instid1(VALU_DEP_2)
	v_fmac_f16_e32 v69, v68, v99
	v_mul_f16_e32 v68, v68, v20
	v_lshrrev_b32_e32 v20, 16, v38
	v_fma_f16 v68, v76, v99, -v68
	s_delay_alu instid0(VALU_DEP_2) | instskip(SKIP_1) | instid1(VALU_DEP_3)
	v_mul_f16_e32 v71, v74, v20
	v_lshrrev_b32_e32 v76, 16, v12
	v_add_f16_e32 v70, v63, v68
	v_sub_f16_e32 v63, v63, v68
	v_add_f16_e32 v68, v10, v69
	v_sub_f16_e32 v10, v10, v69
	v_lshrrev_b32_e32 v69, 16, v74
	s_delay_alu instid0(VALU_DEP_3) | instskip(NEXT) | instid1(VALU_DEP_2)
	v_add_f16_e32 v105, v68, v67
	v_fmac_f16_e32 v71, v69, v38
	v_mul_f16_e32 v69, v69, v20
	v_lshrrev_b32_e32 v20, 16, v160
	s_delay_alu instid0(VALU_DEP_2) | instskip(NEXT) | instid1(VALU_DEP_1)
	v_fma_f16 v69, v74, v38, -v69
	v_add_f16_e32 v74, v69, v65
	v_sub_f16_e32 v65, v65, v69
	v_add_f16_e32 v69, v71, v13
	v_sub_f16_e32 v13, v13, v71
	;; [unrolled: 2-line block ×3, first 2 shown]
	s_delay_alu instid0(VALU_DEP_4) | instskip(NEXT) | instid1(VALU_DEP_4)
	v_add_f16_e32 v105, v69, v105
	v_sub_f16_e32 v109, v13, v10
	s_delay_alu instid0(VALU_DEP_4)
	v_add_f16_e32 v71, v74, v71
	v_add_f16_e32 v108, v13, v10
	v_sub_f16_e32 v13, v8, v13
	v_add_f16_e32 v76, v105, v76
	v_mul_f16_e32 v64, 0x3a52, v64
	v_add_f16_e32 v12, v71, v12
	v_mul_f16_e32 v109, 0xb846, v109
	v_add_f16_e32 v108, v108, v8
	v_lshlrev_b32_e32 v106, 16, v76
	v_fmac_f16_e32 v76, 0xbcab, v105
	v_and_b32_e32 v107, 0xffff, v12
	v_fmac_f16_e32 v12, 0xbcab, v71
	v_sub_f16_e32 v71, v74, v70
	v_sub_f16_e32 v74, v67, v69
	;; [unrolled: 1-line block ×3, first 2 shown]
	v_or_b32_e32 v106, v106, v107
	v_sub_f16_e32 v107, v65, v63
	v_add_f16_e32 v105, v65, v63
	v_sub_f16_e32 v65, v2, v65
	v_mul_f16_e32 v74, 0x3a52, v74
	v_fmamk_f16 v110, v71, 0x2b26, v64
	v_mul_f16_e32 v107, 0xb846, v107
	v_add_f16_e32 v105, v105, v2
	v_fmamk_f16 v112, v13, 0x3574, v109
	v_fmamk_f16 v111, v69, 0x2b26, v74
	v_add_f16_e32 v110, v110, v12
	v_fmamk_f16 v113, v65, 0x3574, v107
	v_sub_f16_e32 v2, v63, v2
	v_fmac_f16_e32 v112, 0x370e, v108
	v_add_f16_e32 v111, v111, v76
	v_sub_f16_e32 v8, v10, v8
	v_fmac_f16_e32 v113, 0x370e, v105
	v_mul_f16_e32 v10, 0x2b26, v71
	v_add_f16_e32 v114, v112, v110
	v_mul_f16_e32 v63, 0x2b26, v69
	s_delay_alu instid0(VALU_DEP_4) | instskip(NEXT) | instid1(VALU_DEP_1)
	v_sub_f16_e32 v115, v111, v113
	v_pack_b32_f16 v114, v114, v115
	ds_store_b32 v210, v62 offset:168
	ds_store_2addr_b32 v240, v106, v114 offset1:7
	v_sub_f16_e32 v62, v70, v66
	v_sub_f16_e32 v66, v68, v67
	s_delay_alu instid0(VALU_DEP_2) | instskip(SKIP_1) | instid1(VALU_DEP_3)
	v_fma_f16 v10, v62, 0x39e0, -v10
	v_fma_f16 v62, v62, 0xb9e0, -v64
	;; [unrolled: 1-line block ×5, first 2 shown]
	v_mul_f16_e32 v2, 0xbb00, v2
	v_add_f16_e32 v10, v10, v12
	v_add_f16_e32 v12, v62, v12
	;; [unrolled: 1-line block ×3, first 2 shown]
	v_fmac_f16_e32 v66, 0x370e, v105
	v_fmac_f16_e32 v2, 0xb574, v65
	v_fma_f16 v65, v8, 0x3b00, -v109
	v_mul_f16_e32 v8, 0xbb00, v8
	v_lshrrev_b32_e32 v74, 16, v79
	s_delay_alu instid0(VALU_DEP_4) | instskip(NEXT) | instid1(VALU_DEP_4)
	v_fmac_f16_e32 v2, 0x370e, v105
	v_fmac_f16_e32 v65, 0x370e, v108
	s_delay_alu instid0(VALU_DEP_4) | instskip(SKIP_1) | instid1(VALU_DEP_4)
	v_fmac_f16_e32 v8, 0xb574, v13
	v_add_f16_e32 v13, v63, v76
	v_sub_f16_e32 v64, v62, v2
	v_add_f16_e32 v2, v2, v62
	s_delay_alu instid0(VALU_DEP_4) | instskip(NEXT) | instid1(VALU_DEP_4)
	v_fmac_f16_e32 v8, 0x370e, v108
	v_add_f16_e32 v67, v66, v13
	v_sub_f16_e32 v13, v13, v66
	v_lshrrev_b32_e32 v62, 16, v77
	s_delay_alu instid0(VALU_DEP_4) | instskip(SKIP_1) | instid1(VALU_DEP_2)
	v_add_f16_e32 v63, v8, v12
	v_sub_f16_e32 v8, v12, v8
	v_pack_b32_f16 v63, v63, v64
	v_sub_f16_e32 v64, v10, v65
	v_add_f16_e32 v10, v65, v10
	s_delay_alu instid0(VALU_DEP_4) | instskip(NEXT) | instid1(VALU_DEP_3)
	v_pack_b32_f16 v2, v8, v2
	v_pack_b32_f16 v64, v64, v67
	s_delay_alu instid0(VALU_DEP_3)
	v_pack_b32_f16 v10, v10, v13
	v_lshrrev_b32_e32 v13, 16, v34
	ds_store_2addr_b32 v240, v63, v64 offset0:14 offset1:21
	ds_store_2addr_b32 v240, v10, v2 offset0:28 offset1:35
	v_lshrrev_b32_e32 v2, 16, v3
	v_lshrrev_b32_e32 v10, 16, v32
	v_mul_f16_e32 v63, v62, v20
	v_mul_f16_e32 v64, v77, v20
	v_lshrrev_b32_e32 v20, 16, v161
	s_delay_alu instid0(VALU_DEP_4) | instskip(NEXT) | instid1(VALU_DEP_4)
	v_mul_f16_e32 v8, v2, v10
	v_fma_f16 v63, v77, v160, -v63
	s_delay_alu instid0(VALU_DEP_4)
	v_fmac_f16_e64 v64, v62, v160
	v_lshrrev_b32_e32 v62, 16, v85
	v_mul_f16_e32 v65, v85, v20
	v_fma_f16 v8, v3, v32, -v8
	v_mul_f16_e32 v3, v3, v10
	v_lshrrev_b32_e32 v10, 16, v75
	s_delay_alu instid0(VALU_DEP_4) | instskip(SKIP_1) | instid1(VALU_DEP_4)
	v_fmac_f16_e64 v65, v62, v161
	v_mul_f16_e32 v62, v62, v20
	v_fmac_f16_e32 v3, v2, v32
	v_lshrrev_b32_e32 v20, 16, v33
	v_mul_f16_e32 v12, v10, v13
	v_mul_f16_e32 v13, v75, v13
	v_fma_f16 v62, v85, v161, -v62
	v_sub_f16_e32 v2, v110, v112
	v_mul_f16_e32 v67, v81, v20
	v_fma_f16 v12, v75, v34, -v12
	v_fmac_f16_e32 v13, v10, v34
	v_add_f16_e32 v66, v8, v62
	v_sub_f16_e32 v8, v8, v62
	v_add_f16_e32 v62, v3, v65
	v_sub_f16_e32 v3, v3, v65
	v_lshrrev_b32_e32 v65, 16, v81
	v_add_f16_e32 v10, v113, v111
	s_delay_alu instid0(VALU_DEP_2) | instskip(SKIP_2) | instid1(VALU_DEP_4)
	v_fmac_f16_e32 v67, v65, v33
	v_mul_f16_e32 v65, v65, v20
	v_lshrrev_b32_e32 v20, 16, v35
	v_pack_b32_f16 v2, v2, v10
	v_and_b32_e32 v10, 0xffff, v16
	s_delay_alu instid0(VALU_DEP_4) | instskip(NEXT) | instid1(VALU_DEP_4)
	v_fma_f16 v65, v81, v33, -v65
	v_mul_f16_e32 v69, v83, v20
	s_delay_alu instid0(VALU_DEP_3) | instskip(NEXT) | instid1(VALU_DEP_3)
	v_mul_u32_u24_e32 v10, 49, v10
	v_add_f16_e32 v68, v65, v63
	v_sub_f16_e32 v63, v65, v63
	v_add_f16_e32 v65, v67, v64
	v_sub_f16_e32 v64, v67, v64
	v_lshrrev_b32_e32 v67, 16, v83
	v_add_lshl_u32 v174, v10, v18, 2
	s_delay_alu instid0(VALU_DEP_4) | instskip(NEXT) | instid1(VALU_DEP_3)
	v_add_f16_e32 v71, v65, v62
	v_fmac_f16_e32 v69, v67, v35
	v_mul_f16_e32 v67, v67, v20
	v_lshrrev_b32_e32 v20, 16, v154
	s_delay_alu instid0(VALU_DEP_2) | instskip(NEXT) | instid1(VALU_DEP_1)
	v_fma_f16 v67, v83, v35, -v67
	v_add_f16_e32 v70, v12, v67
	v_sub_f16_e32 v12, v67, v12
	v_add_f16_e32 v67, v13, v69
	v_sub_f16_e32 v13, v69, v13
	;; [unrolled: 2-line block ×3, first 2 shown]
	v_sub_f16_e32 v16, v70, v68
	v_add_f16_e32 v71, v67, v71
	v_sub_f16_e32 v18, v62, v67
	v_add_f16_e32 v69, v70, v69
	v_sub_f16_e32 v70, v12, v63
	v_sub_f16_e32 v67, v67, v65
	v_add_f16_e32 v74, v71, v74
	v_mul_f16_e32 v10, 0x3a52, v10
	v_add_f16_e32 v75, v69, v79
	v_mul_f16_e32 v18, 0x3a52, v18
	v_mul_f16_e32 v70, 0xb846, v70
	v_lshlrev_b32_e32 v76, 16, v74
	v_fmac_f16_e32 v74, 0xbcab, v71
	v_and_b32_e32 v77, 0xffff, v75
	v_fmac_f16_e32 v75, 0xbcab, v69
	v_add_f16_e32 v69, v12, v63
	v_sub_f16_e32 v12, v8, v12
	v_add_f16_e32 v71, v13, v64
	v_or_b32_e32 v76, v76, v77
	v_sub_f16_e32 v77, v13, v64
	v_sub_f16_e32 v13, v3, v13
	v_add_f16_e32 v69, v69, v8
	v_add_f16_e32 v71, v71, v3
	v_fmamk_f16 v79, v16, 0x2b26, v10
	v_mul_f16_e32 v77, 0xb846, v77
	v_fmamk_f16 v81, v67, 0x2b26, v18
	v_fmamk_f16 v85, v12, 0x3574, v70
	v_mul_f16_e32 v16, 0x2b26, v16
	v_add_f16_e32 v79, v79, v75
	v_fmamk_f16 v83, v13, 0x3574, v77
	v_add_f16_e32 v81, v81, v74
	v_fmac_f16_e32 v85, 0x370e, v69
	v_sub_f16_e32 v62, v65, v62
	v_sub_f16_e32 v8, v63, v8
	v_fmac_f16_e32 v83, 0x370e, v71
	v_sub_f16_e32 v3, v64, v3
	v_sub_f16_e32 v106, v81, v85
	v_fma_f16 v18, v62, 0xb9e0, -v18
	s_delay_alu instid0(VALU_DEP_4) | instskip(NEXT) | instid1(VALU_DEP_1)
	v_add_f16_e32 v105, v83, v79
	v_pack_b32_f16 v105, v105, v106
	ds_store_b32 v240, v2 offset:168
	ds_store_2addr_b32 v174, v76, v105 offset1:7
	v_sub_f16_e32 v2, v68, v66
	s_delay_alu instid0(VALU_DEP_1) | instskip(SKIP_2) | instid1(VALU_DEP_2)
	v_fma_f16 v16, v2, 0x39e0, -v16
	v_fma_f16 v2, v2, 0xb9e0, -v10
	v_mul_f16_e32 v10, 0x2b26, v67
	v_add_f16_e32 v2, v2, v75
	s_delay_alu instid0(VALU_DEP_2) | instskip(SKIP_2) | instid1(VALU_DEP_3)
	v_fma_f16 v10, v62, 0x39e0, -v10
	v_fma_f16 v62, v8, 0x3b00, -v70
	v_mul_f16_e32 v8, 0xbb00, v8
	v_add_f16_e32 v10, v10, v74
	s_delay_alu instid0(VALU_DEP_3) | instskip(NEXT) | instid1(VALU_DEP_3)
	v_fmac_f16_e32 v62, 0x370e, v69
	v_fmac_f16_e32 v8, 0xb574, v12
	v_fma_f16 v12, v3, 0x3b00, -v77
	v_mul_f16_e32 v3, 0xbb00, v3
	s_delay_alu instid0(VALU_DEP_4) | instskip(NEXT) | instid1(VALU_DEP_4)
	v_add_f16_e32 v64, v62, v10
	v_fmac_f16_e32 v8, 0x370e, v69
	s_delay_alu instid0(VALU_DEP_4) | instskip(NEXT) | instid1(VALU_DEP_4)
	v_fmac_f16_e32 v12, 0x370e, v71
	v_fmac_f16_e32 v3, 0xb574, v13
	v_add_f16_e32 v13, v16, v75
	v_add_f16_e32 v16, v18, v74
	v_sub_f16_e32 v10, v10, v62
	v_mul_f16_e32 v62, v86, v20
	v_fmac_f16_e32 v3, 0x370e, v71
	v_lshrrev_b32_e32 v69, 16, v80
	v_sub_f16_e32 v63, v16, v8
	s_delay_alu instid0(VALU_DEP_3) | instskip(SKIP_3) | instid1(VALU_DEP_4)
	v_add_f16_e32 v18, v3, v2
	v_sub_f16_e32 v2, v2, v3
	v_add_f16_e32 v3, v8, v16
	v_lshrrev_b32_e32 v16, 16, v86
	v_pack_b32_f16 v18, v18, v63
	v_sub_f16_e32 v63, v13, v12
	v_add_f16_e32 v12, v12, v13
	s_delay_alu instid0(VALU_DEP_4)
	v_fmac_f16_e64 v62, v16, v154
	v_pack_b32_f16 v2, v2, v3
	v_lshrrev_b32_e32 v13, 16, v31
	v_pack_b32_f16 v63, v63, v64
	v_pack_b32_f16 v8, v12, v10
	v_lshrrev_b32_e32 v10, 16, v84
	ds_store_2addr_b32 v174, v18, v63 offset0:14 offset1:21
	v_mul_f16_e32 v18, v16, v20
	v_lshrrev_b32_e32 v20, 16, v28
	v_lshrrev_b32_e32 v16, 16, v87
	ds_store_2addr_b32 v174, v8, v2 offset0:28 offset1:35
	v_lshrrev_b32_e32 v2, 16, v82
	v_fma_f16 v18, v86, v154, -v18
	v_mul_f16_e32 v63, v87, v20
	v_lshrrev_b32_e32 v8, 16, v29
	v_mul_f16_e32 v12, v10, v13
	v_mul_f16_e32 v13, v84, v13
	s_delay_alu instid0(VALU_DEP_4)
	v_fmac_f16_e32 v63, v16, v28
	v_mul_f16_e32 v16, v16, v20
	v_lshrrev_b32_e32 v20, 16, v153
	v_mul_f16_e32 v3, v2, v8
	v_mul_f16_e32 v8, v82, v8
	v_fma_f16 v12, v84, v31, -v12
	v_fma_f16 v16, v87, v28, -v16
	v_mul_f16_e32 v65, v103, v20
	v_fma_f16 v3, v82, v29, -v3
	v_fmac_f16_e32 v8, v2, v29
	v_fmac_f16_e32 v13, v10, v31
	v_add_f16_e32 v64, v16, v18
	v_sub_f16_e32 v16, v16, v18
	v_add_f16_e32 v18, v63, v62
	v_sub_f16_e32 v62, v63, v62
	v_lshrrev_b32_e32 v63, 16, v103
	v_sub_f16_e32 v2, v79, v83
	v_add_f16_e32 v10, v85, v81
	s_delay_alu instid0(VALU_DEP_3) | instskip(SKIP_2) | instid1(VALU_DEP_4)
	v_fmac_f16_e64 v65, v63, v153
	v_mul_f16_e32 v63, v63, v20
	v_lshrrev_b32_e32 v20, 16, v30
	v_pack_b32_f16 v2, v2, v10
	v_and_b32_e32 v10, 0xffff, v17
	s_delay_alu instid0(VALU_DEP_4) | instskip(NEXT) | instid1(VALU_DEP_4)
	v_fma_f16 v63, v103, v153, -v63
	v_mul_f16_e32 v67, v101, v20
	s_delay_alu instid0(VALU_DEP_3) | instskip(NEXT) | instid1(VALU_DEP_3)
	v_mul_u32_u24_e32 v10, 49, v10
	v_add_f16_e32 v66, v3, v63
	v_sub_f16_e32 v3, v3, v63
	v_add_f16_e32 v63, v8, v65
	v_sub_f16_e32 v8, v8, v65
	v_lshrrev_b32_e32 v65, 16, v101
	v_add_lshl_u32 v168, v10, v19, 2
	s_delay_alu instid0(VALU_DEP_4) | instskip(NEXT) | instid1(VALU_DEP_3)
	v_add_f16_e32 v71, v63, v18
	v_fmac_f16_e32 v67, v65, v30
	v_mul_f16_e32 v65, v65, v20
	v_lshrrev_b32_e32 v20, 16, v157
	s_delay_alu instid0(VALU_DEP_2) | instskip(NEXT) | instid1(VALU_DEP_1)
	v_fma_f16 v65, v101, v30, -v65
	v_add_f16_e32 v68, v65, v12
	v_sub_f16_e32 v12, v12, v65
	v_add_f16_e32 v65, v67, v13
	v_sub_f16_e32 v13, v13, v67
	;; [unrolled: 2-line block ×3, first 2 shown]
	v_sub_f16_e32 v17, v68, v66
	v_add_f16_e32 v71, v65, v71
	v_sub_f16_e32 v19, v18, v65
	v_add_f16_e32 v67, v68, v67
	v_sub_f16_e32 v68, v12, v3
	v_sub_f16_e32 v65, v65, v63
	v_add_f16_e32 v69, v71, v69
	v_mul_f16_e32 v10, 0x3a52, v10
	v_add_f16_e32 v70, v67, v80
	v_mul_f16_e32 v19, 0x3a52, v19
	v_mul_f16_e32 v68, 0xb846, v68
	v_lshlrev_b32_e32 v74, 16, v69
	v_fmac_f16_e32 v69, 0xbcab, v71
	v_and_b32_e32 v75, 0xffff, v70
	v_fmac_f16_e32 v70, 0xbcab, v67
	v_add_f16_e32 v67, v12, v3
	v_sub_f16_e32 v12, v16, v12
	v_add_f16_e32 v71, v13, v8
	v_or_b32_e32 v74, v74, v75
	v_sub_f16_e32 v75, v13, v8
	v_sub_f16_e32 v13, v62, v13
	v_add_f16_e32 v67, v67, v16
	v_add_f16_e32 v71, v71, v62
	v_fmamk_f16 v76, v17, 0x2b26, v10
	v_mul_f16_e32 v75, 0xb846, v75
	v_fmamk_f16 v77, v65, 0x2b26, v19
	v_fmamk_f16 v80, v12, 0x3574, v68
	v_sub_f16_e32 v3, v3, v16
	v_add_f16_e32 v76, v76, v70
	v_fmamk_f16 v79, v13, 0x3574, v75
	v_add_f16_e32 v77, v77, v69
	v_fmac_f16_e32 v80, 0x370e, v67
	v_mul_f16_e32 v16, 0x2b26, v17
	v_sub_f16_e32 v18, v63, v18
	v_fmac_f16_e32 v79, 0x370e, v71
	v_sub_f16_e32 v8, v8, v62
	v_sub_f16_e32 v82, v77, v80
	s_delay_alu instid0(VALU_DEP_4) | instskip(NEXT) | instid1(VALU_DEP_4)
	v_fma_f16 v17, v18, 0xb9e0, -v19
	v_add_f16_e32 v81, v79, v76
	s_delay_alu instid0(VALU_DEP_1) | instskip(SKIP_3) | instid1(VALU_DEP_1)
	v_pack_b32_f16 v81, v81, v82
	ds_store_b32 v174, v2 offset:168
	ds_store_2addr_b32 v168, v74, v81 offset1:7
	v_sub_f16_e32 v2, v66, v64
	v_fma_f16 v16, v2, 0x39e0, -v16
	v_fma_f16 v2, v2, 0xb9e0, -v10
	v_mul_f16_e32 v10, 0x2b26, v65
	v_lshrrev_b32_e32 v65, 16, v44
	s_delay_alu instid0(VALU_DEP_3) | instskip(NEXT) | instid1(VALU_DEP_3)
	v_add_f16_e32 v2, v2, v70
	v_fma_f16 v10, v18, 0x39e0, -v10
	v_fma_f16 v18, v3, 0x3b00, -v68
	v_mul_f16_e32 v3, 0xbb00, v3
	s_delay_alu instid0(VALU_DEP_3) | instskip(NEXT) | instid1(VALU_DEP_3)
	v_add_f16_e32 v10, v10, v69
	v_fmac_f16_e32 v18, 0x370e, v67
	s_delay_alu instid0(VALU_DEP_3) | instskip(SKIP_2) | instid1(VALU_DEP_4)
	v_fmac_f16_e32 v3, 0xb574, v12
	v_fma_f16 v12, v8, 0x3b00, -v75
	v_mul_f16_e32 v8, 0xbb00, v8
	v_add_f16_e32 v62, v18, v10
	s_delay_alu instid0(VALU_DEP_4) | instskip(NEXT) | instid1(VALU_DEP_4)
	v_fmac_f16_e32 v3, 0x370e, v67
	v_fmac_f16_e32 v12, 0x370e, v71
	s_delay_alu instid0(VALU_DEP_4)
	v_fmac_f16_e32 v8, 0xb574, v13
	v_add_f16_e32 v13, v16, v70
	v_add_f16_e32 v16, v17, v69
	v_sub_f16_e32 v10, v10, v18
	v_lshrrev_b32_e32 v18, 16, v156
	v_fmac_f16_e32 v8, 0x370e, v71
	s_delay_alu instid0(VALU_DEP_4) | instskip(SKIP_2) | instid1(VALU_DEP_4)
	v_sub_f16_e32 v19, v16, v3
	v_add_f16_e32 v3, v3, v16
	v_lshrrev_b32_e32 v16, 16, v104
	v_add_f16_e32 v17, v8, v2
	v_sub_f16_e32 v2, v2, v8
	s_delay_alu instid0(VALU_DEP_2) | instskip(SKIP_2) | instid1(VALU_DEP_4)
	v_pack_b32_f16 v17, v17, v19
	v_sub_f16_e32 v19, v13, v12
	v_add_f16_e32 v12, v12, v13
	v_pack_b32_f16 v2, v2, v3
	v_lshrrev_b32_e32 v13, 16, v26
	s_delay_alu instid0(VALU_DEP_4) | instskip(NEXT) | instid1(VALU_DEP_4)
	v_pack_b32_f16 v19, v19, v62
	v_pack_b32_f16 v8, v12, v10
	v_lshrrev_b32_e32 v10, 16, v102
	ds_store_2addr_b32 v168, v17, v19 offset0:14 offset1:21
	v_mul_f16_e32 v17, v16, v18
	v_mul_f16_e32 v18, v104, v18
	ds_store_2addr_b32 v168, v8, v2 offset0:28 offset1:35
	v_lshrrev_b32_e32 v2, 16, v88
	v_lshrrev_b32_e32 v8, 16, v24
	v_mul_f16_e32 v19, v46, v20
	v_fmac_f16_e64 v18, v16, v156
	v_lshrrev_b32_e32 v16, 16, v46
	v_fma_f16 v17, v104, v156, -v17
	v_mul_f16_e32 v3, v2, v8
	v_mul_f16_e32 v8, v88, v8
	;; [unrolled: 1-line block ×3, first 2 shown]
	v_fmac_f16_e64 v19, v16, v157
	v_mul_f16_e32 v16, v16, v20
	v_fma_f16 v3, v88, v24, -v3
	v_fmac_f16_e32 v8, v2, v24
	v_lshrrev_b32_e32 v20, 16, v25
	v_mul_f16_e32 v13, v102, v13
	v_fma_f16 v16, v46, v157, -v16
	v_fma_f16 v12, v102, v26, -v12
	v_sub_f16_e32 v2, v76, v79
	v_mul_f16_e32 v62, v50, v20
	v_fmac_f16_e32 v13, v10, v26
	v_add_f16_e32 v46, v3, v16
	v_sub_f16_e32 v3, v3, v16
	v_add_f16_e32 v16, v8, v19
	v_sub_f16_e32 v8, v8, v19
	v_lshrrev_b32_e32 v19, 16, v50
	v_add_f16_e32 v10, v80, v77
	s_delay_alu instid0(VALU_DEP_2) | instskip(SKIP_2) | instid1(VALU_DEP_4)
	v_fmac_f16_e32 v62, v19, v25
	v_mul_f16_e32 v19, v19, v20
	v_lshrrev_b32_e32 v20, 16, v27
	v_pack_b32_f16 v2, v2, v10
	s_delay_alu instid0(VALU_DEP_3) | instskip(NEXT) | instid1(VALU_DEP_3)
	v_fma_f16 v19, v50, v25, -v19
	v_mul_f16_e32 v63, v48, v20
	s_delay_alu instid0(VALU_DEP_2) | instskip(SKIP_4) | instid1(VALU_DEP_3)
	v_add_f16_e32 v50, v19, v17
	v_sub_f16_e32 v17, v19, v17
	v_add_f16_e32 v19, v62, v18
	v_sub_f16_e32 v18, v62, v18
	v_lshrrev_b32_e32 v62, 16, v48
	v_add_f16_e32 v64, v19, v16
	s_delay_alu instid0(VALU_DEP_2) | instskip(SKIP_2) | instid1(VALU_DEP_2)
	v_fmac_f16_e32 v63, v62, v27
	v_mul_f16_e32 v62, v62, v20
	v_lshrrev_b32_e32 v20, 16, v158
	v_fma_f16 v48, v48, v27, -v62
	s_delay_alu instid0(VALU_DEP_1)
	v_add_f16_e32 v62, v12, v48
	v_sub_f16_e32 v12, v48, v12
	v_add_f16_e32 v48, v13, v63
	v_sub_f16_e32 v13, v63, v13
	;; [unrolled: 2-line block ×3, first 2 shown]
	v_sub_f16_e32 v1, v62, v50
	v_add_f16_e32 v64, v48, v64
	v_sub_f16_e32 v10, v16, v48
	v_add_f16_e32 v63, v62, v63
	;; [unrolled: 2-line block ×3, first 2 shown]
	v_add_f16_e32 v65, v64, v65
	v_mul_f16_e32 v0, 0x3a52, v0
	v_add_f16_e32 v44, v63, v44
	v_mul_f16_e32 v10, 0x3a52, v10
	v_add_f16_e32 v62, v62, v3
	v_lshlrev_b32_e32 v66, 16, v65
	v_fmac_f16_e32 v65, 0xbcab, v64
	v_and_b32_e32 v67, 0xffff, v44
	v_fmac_f16_e32 v44, 0xbcab, v63
	v_sub_f16_e32 v63, v12, v17
	v_sub_f16_e32 v12, v3, v12
	v_add_f16_e32 v64, v13, v18
	v_or_b32_e32 v66, v66, v67
	v_sub_f16_e32 v67, v13, v18
	v_sub_f16_e32 v13, v8, v13
	v_mul_f16_e32 v63, 0xb846, v63
	v_add_f16_e32 v64, v64, v8
	v_fmamk_f16 v68, v1, 0x2b26, v0
	v_mul_f16_e32 v67, 0xb846, v67
	v_fmamk_f16 v69, v48, 0x2b26, v10
	v_fmamk_f16 v71, v12, 0x3574, v63
	v_mul_f16_e32 v1, 0x2b26, v1
	v_add_f16_e32 v68, v68, v44
	v_fmamk_f16 v70, v13, 0x3574, v67
	v_add_f16_e32 v69, v69, v65
	v_fmac_f16_e32 v71, 0x370e, v62
	v_sub_f16_e32 v16, v19, v16
	v_sub_f16_e32 v3, v17, v3
	v_fmac_f16_e32 v70, 0x370e, v64
	v_sub_f16_e32 v8, v18, v8
	v_sub_f16_e32 v75, v69, v71
	v_fma_f16 v10, v16, 0xb9e0, -v10
	v_mul_f16_e32 v19, v14, v20
	v_add_f16_e32 v74, v70, v68
	s_delay_alu instid0(VALU_DEP_3) | instskip(NEXT) | instid1(VALU_DEP_2)
	v_add_f16_e32 v10, v10, v65
	v_pack_b32_f16 v74, v74, v75
	ds_store_b32 v168, v2 offset:168
	ds_store_2addr_b32 v163, v66, v74 offset1:7
	v_sub_f16_e32 v2, v50, v46
	s_delay_alu instid0(VALU_DEP_1) | instskip(SKIP_2) | instid1(VALU_DEP_3)
	v_fma_f16 v1, v2, 0x39e0, -v1
	v_fma_f16 v0, v2, 0xb9e0, -v0
	v_mul_f16_e32 v2, 0x2b26, v48
	v_add_f16_e32 v1, v1, v44
	s_delay_alu instid0(VALU_DEP_3) | instskip(NEXT) | instid1(VALU_DEP_3)
	v_add_f16_e32 v0, v0, v44
	v_fma_f16 v2, v16, 0x39e0, -v2
	v_fma_f16 v16, v3, 0x3b00, -v63
	v_mul_f16_e32 v3, 0xbb00, v3
	v_lshrrev_b32_e32 v44, 16, v45
	s_delay_alu instid0(VALU_DEP_4) | instskip(NEXT) | instid1(VALU_DEP_4)
	v_add_f16_e32 v2, v2, v65
	v_fmac_f16_e32 v16, 0x370e, v62
	s_delay_alu instid0(VALU_DEP_4) | instskip(SKIP_2) | instid1(VALU_DEP_4)
	v_fmac_f16_e32 v3, 0xb574, v12
	v_fma_f16 v12, v8, 0x3b00, -v67
	v_mul_f16_e32 v8, 0xbb00, v8
	v_add_f16_e32 v18, v16, v2
	s_delay_alu instid0(VALU_DEP_4) | instskip(NEXT) | instid1(VALU_DEP_4)
	v_fmac_f16_e32 v3, 0x370e, v62
	v_fmac_f16_e32 v12, 0x370e, v64
	s_delay_alu instid0(VALU_DEP_4)
	v_fmac_f16_e32 v8, 0xb574, v13
	v_sub_f16_e32 v2, v2, v16
	v_lshrrev_b32_e32 v16, 16, v159
	v_sub_f16_e32 v17, v10, v3
	v_add_f16_e32 v3, v3, v10
	v_fmac_f16_e32 v8, 0x370e, v64
	v_lshrrev_b32_e32 v10, 16, v98
	s_delay_alu instid0(VALU_DEP_2) | instskip(SKIP_1) | instid1(VALU_DEP_2)
	v_add_f16_e32 v13, v8, v0
	v_sub_f16_e32 v0, v0, v8
	v_pack_b32_f16 v13, v13, v17
	v_sub_f16_e32 v17, v1, v12
	v_add_f16_e32 v1, v12, v1
	v_lshrrev_b32_e32 v12, 16, v47
	v_pack_b32_f16 v0, v0, v3
	v_lshrrev_b32_e32 v3, 16, v49
	v_pack_b32_f16 v17, v17, v18
	;; [unrolled: 2-line block ×3, first 2 shown]
	v_lshrrev_b32_e32 v2, 16, v96
	v_mul_f16_e32 v8, v3, v10
	ds_store_2addr_b32 v163, v13, v17 offset0:14 offset1:21
	v_mul_f16_e32 v13, v12, v16
	v_mul_f16_e32 v16, v47, v16
	v_mul_f16_e32 v17, v42, v18
	ds_store_2addr_b32 v163, v1, v0 offset0:28 offset1:35
	v_lshrrev_b32_e32 v0, 16, v51
	v_fma_f16 v13, v47, v159, -v13
	v_fmac_f16_e64 v16, v12, v159
	v_lshrrev_b32_e32 v12, 16, v42
	v_mul_f16_e32 v10, v49, v10
	v_mul_f16_e32 v1, v0, v2
	v_mul_f16_e32 v2, v51, v2
	v_fma_f16 v8, v49, v98, -v8
	v_fmac_f16_e32 v17, v12, v95
	v_mul_f16_e32 v12, v12, v18
	v_fma_f16 v1, v51, v96, -v1
	v_fmac_f16_e32 v2, v0, v96
	v_fmac_f16_e32 v10, v3, v98
	v_sub_f16_e32 v0, v68, v70
	v_fma_f16 v12, v42, v95, -v12
	v_add_f16_e32 v3, v71, v69
	s_delay_alu instid0(VALU_DEP_2)
	v_add_f16_e32 v18, v12, v13
	v_sub_f16_e32 v12, v12, v13
	v_add_f16_e32 v13, v17, v16
	v_sub_f16_e32 v16, v17, v16
	v_lshrrev_b32_e32 v17, 16, v14
	v_pack_b32_f16 v0, v0, v3
	s_delay_alu instid0(VALU_DEP_2)
	v_fmac_f16_e64 v19, v17, v158
	v_mul_f16_e32 v17, v17, v20
	v_lshrrev_b32_e32 v20, 16, v97
	ds_store_b32 v163, v0 offset:168
	v_mad_u16 v0, v72, 49, v73
	v_fma_f16 v14, v14, v158, -v17
	v_mul_f16_e32 v42, v40, v20
	s_delay_alu instid0(VALU_DEP_3) | instskip(NEXT) | instid1(VALU_DEP_3)
	v_and_b32_e32 v0, 0xffff, v0
	v_add_f16_e32 v17, v1, v14
	v_sub_f16_e32 v1, v1, v14
	v_add_f16_e32 v14, v2, v19
	v_sub_f16_e32 v2, v2, v19
	v_lshrrev_b32_e32 v19, 16, v40
	v_lshlrev_b32_e32 v166, 2, v0
	v_sub_f16_e32 v0, v17, v18
	v_add_f16_e32 v3, v14, v13
	s_delay_alu instid0(VALU_DEP_4) | instskip(SKIP_1) | instid1(VALU_DEP_1)
	v_fmac_f16_e32 v42, v19, v97
	v_mul_f16_e32 v19, v19, v20
	v_fma_f16 v19, v40, v97, -v19
	s_delay_alu instid0(VALU_DEP_1) | instskip(SKIP_4) | instid1(VALU_DEP_4)
	v_add_f16_e32 v40, v19, v8
	v_sub_f16_e32 v8, v8, v19
	v_add_f16_e32 v19, v42, v10
	v_sub_f16_e32 v10, v10, v42
	;; [unrolled: 2-line block ×3, first 2 shown]
	s_delay_alu instid0(VALU_DEP_4) | instskip(NEXT) | instid1(VALU_DEP_4)
	v_add_f16_e32 v3, v19, v3
	v_sub_f16_e32 v50, v10, v2
	s_delay_alu instid0(VALU_DEP_4)
	v_add_f16_e32 v42, v40, v42
	v_add_f16_e32 v49, v10, v2
	v_mul_f16_e32 v48, 0xb846, v48
	v_add_f16_e32 v44, v3, v44
	v_mul_f16_e32 v50, 0xb846, v50
	v_add_f16_e32 v45, v42, v45
	v_sub_f16_e32 v2, v2, v16
	v_sub_f16_e32 v10, v16, v10
	v_lshlrev_b32_e32 v46, 16, v44
	v_fmac_f16_e32 v44, 0xbcab, v3
	v_and_b32_e32 v47, 0xffff, v45
	v_sub_f16_e32 v3, v18, v40
	v_sub_f16_e32 v40, v40, v17
	v_fmac_f16_e32 v45, 0xbcab, v42
	v_sub_f16_e32 v42, v13, v19
	v_or_b32_e32 v46, v46, v47
	v_add_f16_e32 v47, v8, v1
	v_sub_f16_e32 v1, v1, v12
	v_sub_f16_e32 v19, v19, v14
	;; [unrolled: 1-line block ×3, first 2 shown]
	v_mul_f16_e32 v3, 0x3a52, v3
	v_add_f16_e32 v47, v47, v12
	v_sub_f16_e32 v13, v14, v13
	v_mul_f16_e32 v12, 0x2b26, v40
	v_fma_f16 v14, v1, 0x3b00, -v48
	v_mul_f16_e32 v1, 0xbb00, v1
	v_mul_f16_e32 v42, 0x3a52, v42
	v_fmamk_f16 v51, v40, 0x2b26, v3
	v_fmamk_f16 v64, v8, 0x3574, v48
	v_fma_f16 v12, v0, 0x39e0, -v12
	v_fma_f16 v0, v0, 0xb9e0, -v3
	v_mul_f16_e32 v3, 0x2b26, v19
	v_fmac_f16_e32 v1, 0xb574, v8
	v_fma_f16 v8, v2, 0x3b00, -v50
	v_mul_f16_e32 v2, 0xbb00, v2
	v_add_f16_e32 v49, v49, v16
	v_fma_f16 v3, v13, 0x39e0, -v3
	v_fma_f16 v13, v13, 0xb9e0, -v42
	v_fmamk_f16 v63, v10, 0x3574, v50
	v_fmac_f16_e32 v2, 0xb574, v10
	v_add_f16_e32 v10, v12, v45
	v_add_f16_e32 v0, v0, v45
	;; [unrolled: 1-line block ×3, first 2 shown]
	v_fmac_f16_e32 v1, 0x370e, v47
	v_fmac_f16_e32 v2, 0x370e, v49
	v_add_f16_e32 v3, v3, v44
	v_fmac_f16_e32 v14, 0x370e, v47
	v_fmac_f16_e32 v8, 0x370e, v49
	v_sub_f16_e32 v16, v12, v1
	v_add_f16_e32 v13, v2, v0
	v_sub_f16_e32 v0, v0, v2
	v_add_f16_e32 v17, v14, v3
	;; [unrolled: 2-line block ×3, first 2 shown]
	v_pack_b32_f16 v13, v13, v16
	v_sub_f16_e32 v16, v10, v8
	v_add_f16_e32 v8, v8, v10
	v_lshrrev_b32_e32 v14, 16, v5
	v_pack_b32_f16 v0, v0, v1
	v_fmamk_f16 v62, v19, 0x2b26, v42
	v_pack_b32_f16 v16, v16, v17
	v_lshrrev_b32_e32 v17, 16, v92
	v_pack_b32_f16 v2, v8, v3
	v_lshrrev_b32_e32 v3, 16, v6
	v_lshrrev_b32_e32 v10, 16, v41
	ds_store_2addr_b32 v166, v13, v16 offset0:14 offset1:21
	v_mul_f16_e32 v16, v14, v17
	ds_store_2addr_b32 v166, v2, v0 offset0:28 offset1:35
	v_lshrrev_b32_e32 v0, 16, v43
	v_mul_f16_e64 v2, v43, v225
	v_mul_f16_e64 v8, v3, v227
	;; [unrolled: 1-line block ×3, first 2 shown]
	v_fma_f16 v16, v5, v92, -v16
	v_mul_f16_e32 v5, v5, v17
	v_lshrrev_b32_e32 v17, 16, v15
	v_lshrrev_b32_e32 v19, 16, v254
	v_mul_f16_e64 v1, v0, v225
	v_fma_f16 v8, v6, v90, -v8
	v_mul_f16_e64 v6, v6, v227
	v_mul_f16_e64 v12, v10, v243
	v_mul_f16_e32 v18, v17, v19
	v_fmac_f16_e32 v2, v0, v89
	v_fmac_f16_e32 v13, v10, v91
	v_lshrrev_b32_e32 v0, 16, v11
	v_lshrrev_b32_e32 v10, 16, v255
	v_fma_f16 v18, v15, v254, -v18
	v_mul_f16_e32 v15, v15, v19
	v_fmac_f16_e32 v6, v3, v90
	v_add_f16_e32 v51, v51, v45
	v_mul_f16_e32 v3, v0, v10
	v_mul_f16_e32 v10, v11, v10
	v_add_f16_e32 v62, v62, v44
	v_fmac_f16_e32 v63, 0x370e, v49
	v_fmac_f16_e32 v64, 0x370e, v47
	v_fma_f16 v1, v43, v89, -v1
	v_fmac_f16_e64 v15, v17, v254
	v_fma_f16 v3, v11, v255, -v3
	v_fmac_f16_e64 v10, v0, v255
	v_fma_f16 v12, v41, v91, -v12
	v_fmac_f16_e32 v5, v14, v92
	v_sub_f16_e32 v0, v51, v63
	v_add_f16_e32 v11, v64, v62
	v_add_f16_e32 v14, v1, v3
	v_sub_f16_e32 v1, v1, v3
	v_add_f16_e32 v3, v2, v10
	v_sub_f16_e32 v2, v2, v10
	v_add_f16_e32 v10, v8, v18
	v_add_f16_e32 v17, v6, v15
	v_sub_f16_e32 v6, v6, v15
	v_add_f16_e32 v15, v12, v16
	v_sub_f16_e32 v12, v16, v12
	;; [unrolled: 2-line block ×3, first 2 shown]
	v_add_f16_e32 v13, v10, v14
	v_pack_b32_f16 v0, v0, v11
	v_add_f16_e32 v11, v17, v3
	v_sub_f16_e32 v8, v8, v18
	v_lshrrev_b32_e32 v18, 16, v4
	v_add_f16_e32 v13, v15, v13
	ds_store_b32 v166, v0 offset:168
	v_add_f16_e32 v11, v16, v11
	v_mad_u16 v0, v7, 49, v9
	v_sub_f16_e32 v7, v14, v15
	v_add_f16_e32 v4, v13, v4
	v_sub_f16_e32 v9, v15, v10
	v_add_f16_e32 v18, v11, v18
	v_add_f16_e32 v15, v12, v8
	v_sub_f16_e32 v41, v5, v6
	v_and_b32_e32 v40, 0xffff, v4
	v_fmac_f16_e32 v4, 0xbcab, v13
	v_lshlrev_b32_e32 v19, 16, v18
	v_fmac_f16_e32 v18, 0xbcab, v11
	v_sub_f16_e32 v11, v3, v16
	v_sub_f16_e32 v13, v16, v17
	v_sub_f16_e32 v16, v12, v8
	v_or_b32_e32 v19, v19, v40
	v_add_f16_e32 v40, v5, v6
	v_and_b32_e32 v0, 0xffff, v0
	v_sub_f16_e32 v12, v1, v12
	v_sub_f16_e32 v5, v2, v5
	v_add_f16_e32 v15, v15, v1
	v_mul_f16_e32 v7, 0x3a52, v7
	v_add_f16_e32 v40, v40, v2
	v_mul_f16_e32 v16, 0xb846, v16
	v_mul_f16_e32 v41, 0xb846, v41
	v_lshlrev_b32_e32 v167, 2, v0
	v_sub_f16_e32 v0, v10, v14
	v_sub_f16_e32 v1, v8, v1
	;; [unrolled: 1-line block ×3, first 2 shown]
	v_mul_f16_e32 v6, 0x2b26, v9
	v_mul_f16_e32 v11, 0x3a52, v11
	v_fmamk_f16 v42, v9, 0x2b26, v7
	v_sub_f16_e32 v3, v17, v3
	v_fma_f16 v8, v1, 0x3b00, -v16
	v_fma_f16 v6, v0, 0x39e0, -v6
	;; [unrolled: 1-line block ×3, first 2 shown]
	v_mul_f16_e32 v7, 0x2b26, v13
	v_mul_f16_e32 v1, 0xbb00, v1
	v_fma_f16 v9, v2, 0x3b00, -v41
	v_mul_f16_e32 v2, 0xbb00, v2
	v_add_f16_e32 v0, v0, v4
	v_fma_f16 v7, v3, 0x39e0, -v7
	v_fma_f16 v3, v3, 0xb9e0, -v11
	v_fmac_f16_e32 v1, 0xb574, v12
	v_fmac_f16_e32 v2, 0xb574, v5
	v_add_f16_e32 v42, v42, v4
	v_fmamk_f16 v44, v5, 0x3574, v41
	v_add_f16_e32 v3, v3, v18
	v_fmac_f16_e32 v1, 0x370e, v15
	v_fmac_f16_e32 v2, 0x370e, v40
	v_add_f16_e32 v5, v6, v4
	v_add_f16_e32 v4, v7, v18
	v_fmac_f16_e32 v8, 0x370e, v15
	v_fmac_f16_e32 v9, 0x370e, v40
	v_add_f16_e32 v6, v2, v0
	v_sub_f16_e32 v7, v3, v1
	v_add_f16_e32 v65, v63, v51
	v_sub_f16_e32 v66, v62, v64
	v_fmamk_f16 v43, v13, 0x2b26, v11
	v_fmamk_f16 v45, v12, 0x3574, v16
	v_pack_b32_f16 v6, v6, v7
	v_sub_f16_e32 v7, v5, v9
	v_add_f16_e32 v10, v8, v4
	v_add_f16_e32 v5, v9, v5
	v_sub_f16_e32 v4, v4, v8
	v_sub_f16_e32 v0, v0, v2
	v_add_f16_e32 v1, v1, v3
	v_pack_b32_f16 v65, v65, v66
	v_add_f16_e32 v43, v43, v18
	v_fmac_f16_e32 v44, 0x370e, v40
	v_fmac_f16_e32 v45, 0x370e, v15
	v_pack_b32_f16 v2, v5, v4
	v_pack_b32_f16 v0, v0, v1
	ds_store_2addr_b32 v166, v46, v65 offset1:7
	v_add_f16_e32 v46, v44, v42
	v_sub_f16_e32 v47, v43, v45
	v_add_f16_e32 v1, v45, v43
	ds_store_2addr_b32 v167, v2, v0 offset0:28 offset1:35
	v_sub_f16_e32 v0, v42, v44
	v_mad_co_u64_u32 v[8:9], null, v176, 24, s[6:7]
	v_pack_b32_f16 v46, v46, v47
	v_pack_b32_f16 v7, v7, v10
	s_delay_alu instid0(VALU_DEP_4)
	v_pack_b32_f16 v0, v0, v1
	v_mul_lo_u16 v1, 0x4f, v57
	ds_store_2addr_b32 v167, v19, v46 offset1:7
	ds_store_2addr_b32 v167, v6, v7 offset0:14 offset1:21
	ds_store_b32 v167, v0 offset:168
	global_wb scope:SCOPE_SE
	s_wait_dscnt 0x0
	s_barrier_signal -1
	s_barrier_wait -1
	global_inv scope:SCOPE_SE
	s_clause 0x1
	global_load_b64 v[248:249], v[8:9], off offset:184
	global_load_b128 v[212:215], v[8:9], off offset:168
	v_lshrrev_b16 v1, 8, v1
	ds_load_2addr_b32 v[10:11], v252 offset0:38 offset1:87
	ds_load_2addr_b32 v[13:14], v187 offset0:10 offset1:59
	ds_load_2addr_b32 v[62:63], v223 offset0:92 offset1:141
	v_sub_nc_u16 v2, v52, v1
	s_delay_alu instid0(VALU_DEP_1) | instskip(NEXT) | instid1(VALU_DEP_1)
	v_lshrrev_b16 v2, 1, v2
	v_and_b32_e32 v2, 0x7f, v2
	s_delay_alu instid0(VALU_DEP_1) | instskip(NEXT) | instid1(VALU_DEP_1)
	v_add_nc_u16 v1, v2, v1
	v_lshrrev_b16 v0, 5, v1
	s_delay_alu instid0(VALU_DEP_1) | instskip(NEXT) | instid1(VALU_DEP_1)
	v_mul_lo_u16 v0, v0, 49
	v_sub_nc_u16 v40, v52, v0
	v_mul_lo_u16 v0, 0x4f, v61
	s_delay_alu instid0(VALU_DEP_1) | instskip(NEXT) | instid1(VALU_DEP_1)
	v_lshrrev_b16 v0, 8, v0
	v_sub_nc_u16 v1, v53, v0
	s_delay_alu instid0(VALU_DEP_1) | instskip(NEXT) | instid1(VALU_DEP_1)
	v_lshrrev_b16 v1, 1, v1
	v_and_b32_e32 v1, 0x7f, v1
	s_delay_alu instid0(VALU_DEP_1) | instskip(SKIP_1) | instid1(VALU_DEP_2)
	v_add_nc_u16 v0, v1, v0
	v_mul_lo_u16 v1, 0x4f, v60
	v_lshrrev_b16 v0, 5, v0
	s_delay_alu instid0(VALU_DEP_2) | instskip(NEXT) | instid1(VALU_DEP_2)
	v_lshrrev_b16 v1, 8, v1
	v_mul_lo_u16 v0, v0, 49
	s_delay_alu instid0(VALU_DEP_2) | instskip(NEXT) | instid1(VALU_DEP_2)
	v_sub_nc_u16 v2, v54, v1
	v_sub_nc_u16 v41, v53, v0
	s_delay_alu instid0(VALU_DEP_2) | instskip(NEXT) | instid1(VALU_DEP_1)
	v_lshrrev_b16 v2, 1, v2
	v_and_b32_e32 v2, 0x7f, v2
	s_delay_alu instid0(VALU_DEP_1) | instskip(NEXT) | instid1(VALU_DEP_1)
	v_add_nc_u16 v1, v2, v1
	v_lshrrev_b16 v0, 5, v1
	s_delay_alu instid0(VALU_DEP_1) | instskip(NEXT) | instid1(VALU_DEP_1)
	v_mul_lo_u16 v0, v0, 49
	v_sub_nc_u16 v42, v54, v0
	v_mul_u32_u24_e32 v0, 0x4e5f, v59
	ds_load_2addr_b32 v[59:60], v181 offset0:174 offset1:223
	v_and_b32_e32 v107, 0xff, v42
	v_lshrrev_b32_e32 v0, 16, v0
	s_delay_alu instid0(VALU_DEP_2) | instskip(NEXT) | instid1(VALU_DEP_2)
	v_mad_co_u64_u32 v[48:49], null, v107, 24, s[6:7]
	v_sub_nc_u16 v1, v55, v0
	v_lshlrev_b32_e32 v22, 2, v107
	s_delay_alu instid0(VALU_DEP_2) | instskip(NEXT) | instid1(VALU_DEP_2)
	v_lshrrev_b16 v1, 1, v1
	v_add_nc_u32_e32 v23, 0x1400, v22
	s_delay_alu instid0(VALU_DEP_2) | instskip(SKIP_1) | instid1(VALU_DEP_2)
	v_add_nc_u16 v0, v1, v0
	v_mul_u32_u24_e32 v1, 0x4e5f, v58
	v_lshrrev_b16 v0, 5, v0
	s_delay_alu instid0(VALU_DEP_2) | instskip(NEXT) | instid1(VALU_DEP_2)
	v_lshrrev_b32_e32 v1, 16, v1
	v_mul_lo_u16 v0, v0, 49
	s_delay_alu instid0(VALU_DEP_2) | instskip(NEXT) | instid1(VALU_DEP_2)
	v_sub_nc_u16 v2, v56, v1
	v_sub_nc_u16 v79, v55, v0
	s_delay_alu instid0(VALU_DEP_2) | instskip(NEXT) | instid1(VALU_DEP_1)
	v_lshrrev_b16 v2, 1, v2
	v_add_nc_u16 v1, v2, v1
	s_wait_dscnt 0x2
	v_lshrrev_b32_e32 v2, 16, v13
	s_delay_alu instid0(VALU_DEP_2) | instskip(NEXT) | instid1(VALU_DEP_1)
	v_lshrrev_b16 v0, 5, v1
	v_mul_lo_u16 v0, v0, 49
	s_delay_alu instid0(VALU_DEP_1)
	v_sub_nc_u16 v15, v56, v0
	v_lshrrev_b32_e32 v0, 16, v11
	s_wait_loadcnt 0x1
	v_lshrrev_b32_e32 v165, 16, v249
	s_wait_loadcnt 0x0
	v_lshrrev_b32_e32 v177, 16, v212
	v_lshrrev_b32_e32 v162, 16, v248
	;; [unrolled: 1-line block ×4, first 2 shown]
	v_mul_f16_e64 v3, v13, v165
	v_mul_f16_e64 v1, v11, v177
	v_lshrrev_b32_e32 v183, 16, v214
	s_delay_alu instid0(VALU_DEP_3) | instskip(NEXT) | instid1(VALU_DEP_3)
	v_fmac_f16_e64 v3, v2, v249
	v_fmac_f16_e64 v1, v0, v212
	v_mul_f16_e64 v0, v0, v177
	v_mul_f16_e64 v2, v2, v165
	s_delay_alu instid0(VALU_DEP_3) | instskip(NEXT) | instid1(VALU_DEP_3)
	v_add_f16_e32 v87, v1, v3
	v_fma_f16 v0, v11, v212, -v0
	ds_load_2addr_b32 v[11:12], v194 offset0:130 offset1:179
	v_fma_f16 v2, v13, v249, -v2
	v_sub_f16_e32 v86, v1, v3
	s_wait_dscnt 0x1
	v_mul_f16_e64 v1, v59, v184
	s_delay_alu instid0(VALU_DEP_3) | instskip(SKIP_2) | instid1(VALU_DEP_1)
	v_add_f16_e32 v80, v0, v2
	v_sub_f16_e32 v85, v0, v2
	v_lshrrev_b32_e32 v0, 16, v59
	v_fmac_f16_e64 v1, v0, v213
	v_mul_f16_e64 v0, v0, v184
	s_delay_alu instid0(VALU_DEP_1) | instskip(SKIP_3) | instid1(VALU_DEP_1)
	v_fma_f16 v0, v59, v213, -v0
	s_wait_dscnt 0x0
	v_lshrrev_b32_e32 v2, 16, v12
	v_mul_f16_e64 v3, v12, v162
	v_fmac_f16_e64 v3, v2, v248
	v_mul_f16_e64 v2, v2, v162
	s_delay_alu instid0(VALU_DEP_2) | instskip(NEXT) | instid1(VALU_DEP_2)
	v_add_f16_e32 v113, v1, v3
	v_fma_f16 v2, v12, v248, -v2
	ds_load_2addr_b32 v[12:13], v94 offset0:84 offset1:133
	v_sub_f16_e32 v112, v1, v3
	v_mul_f16_e64 v3, v62, v188
	v_add_f16_e32 v5, v113, v87
	v_add_f16_e32 v88, v0, v2
	v_sub_f16_e32 v111, v0, v2
	v_lshrrev_b32_e32 v2, 16, v62
	v_sub_f16_e32 v17, v112, v86
	s_delay_alu instid0(VALU_DEP_3) | instskip(NEXT) | instid1(VALU_DEP_3)
	v_sub_f16_e32 v16, v111, v85
	v_fmac_f16_e64 v3, v2, v215
	v_mul_f16_e64 v2, v2, v188
	s_delay_alu instid0(VALU_DEP_1) | instskip(SKIP_4) | instid1(VALU_DEP_1)
	v_fma_f16 v2, v62, v215, -v2
	ds_load_2addr_b32 v[61:62], v152 offset1:49
	s_wait_dscnt 0x1
	v_lshrrev_b32_e32 v0, 16, v13
	v_mul_f16_e64 v1, v13, v183
	v_fmac_f16_e64 v1, v0, v214
	v_mul_f16_e64 v0, v0, v183
	s_delay_alu instid0(VALU_DEP_1) | instskip(NEXT) | instid1(VALU_DEP_1)
	v_fma_f16 v0, v13, v214, -v0
	v_add_f16_e32 v4, v0, v2
	v_sub_f16_e32 v0, v2, v0
	v_add_f16_e32 v2, v1, v3
	v_sub_f16_e32 v3, v3, v1
	v_add_f16_e32 v1, v88, v80
	s_wait_dscnt 0x0
	v_lshrrev_b32_e32 v6, 16, v61
	v_add_f16_e32 v5, v2, v5
	v_sub_f16_e32 v121, v2, v113
	v_add_f16_e32 v1, v4, v1
	v_sub_f16_e32 v13, v3, v112
	v_sub_f16_e32 v120, v86, v3
	v_add_f16_e32 v114, v5, v6
	v_mul_f16_e32 v18, 0x2b26, v121
	v_add_f16_e32 v61, v1, v61
	s_delay_alu instid0(VALU_DEP_3) | instskip(SKIP_1) | instid1(VALU_DEP_3)
	v_lshlrev_b32_e32 v6, 16, v114
	v_fmac_f16_e32 v114, 0xbcab, v5
	v_and_b32_e32 v7, 0xffff, v61
	v_sub_f16_e32 v5, v80, v4
	v_fmac_f16_e32 v61, 0xbcab, v1
	v_sub_f16_e32 v1, v4, v88
	v_sub_f16_e32 v4, v87, v2
	v_or_b32_e32 v82, v6, v7
	v_add_f16_e32 v2, v0, v111
	v_sub_f16_e32 v6, v0, v111
	v_mul_f16_e32 v123, 0x3a52, v5
	v_sub_f16_e32 v0, v85, v0
	v_add_f16_e32 v7, v3, v112
	v_add_f16_e32 v118, v2, v85
	v_mul_f16_e32 v3, 0x3a52, v4
	v_mul_f16_e32 v122, 0xb846, v6
	;; [unrolled: 1-line block ×3, first 2 shown]
	v_fmamk_f16 v4, v1, 0x2b26, v123
	v_add_f16_e32 v119, v7, v86
	v_mul_lo_u16 v7, v79, 24
	v_fmamk_f16 v117, v0, 0x3574, v122
	v_fmamk_f16 v116, v120, 0x3574, v2
	v_add_f16_e32 v81, v4, v61
	v_fmamk_f16 v4, v121, 0x2b26, v3
	v_and_b32_e32 v5, 0xff, v40
	v_fmac_f16_e32 v117, 0x370e, v118
	v_fmac_f16_e32 v116, 0x370e, v119
	v_and_b32_e32 v6, 0xff, v41
	v_add_f16_e32 v115, v4, v114
	v_and_b32_e32 v7, 0xffff, v7
	v_mad_co_u64_u32 v[44:45], null, v5, 24, s[6:7]
	v_add_f16_e32 v13, v116, v81
	s_delay_alu instid0(VALU_DEP_4) | instskip(SKIP_2) | instid1(VALU_DEP_3)
	v_sub_f16_e32 v43, v115, v117
	v_mad_co_u64_u32 v[46:47], null, v6, 24, s[6:7]
	v_add_co_u32 v40, s2, s6, v7
	v_pack_b32_f16 v4, v13, v43
	v_mul_lo_u16 v13, v15, 24
	s_wait_alu 0xf1ff
	v_add_co_ci_u32_e64 v41, null, s7, 0, s2
	v_sub_f16_e32 v7, v113, v87
	v_lshlrev_b32_e32 v5, 2, v5
	v_and_b32_e32 v13, 0xffff, v13
	v_mul_f16_e32 v1, 0x2b26, v1
	v_lshrrev_b32_e32 v86, 16, v62
	v_fma_f16 v18, v7, 0x39e0, -v18
	v_fma_f16 v3, v7, 0xb9e0, -v3
	v_add_co_u32 v42, s2, s6, v13
	s_wait_alu 0xf1ff
	v_add_co_ci_u32_e64 v43, null, s7, 0, s2
	ds_load_b32 v13, v152 offset:9408
	s_clause 0x9
	global_load_b64 v[192:193], v[44:45], off offset:184
	global_load_b128 v[56:59], v[44:45], off offset:168
	global_load_b64 v[196:197], v[46:47], off offset:184
	global_load_b128 v[52:55], v[46:47], off offset:168
	;; [unrolled: 2-line block ×5, first 2 shown]
	v_fma_f16 v7, v16, 0x3b00, -v122
	v_mul_f16_e32 v16, 0xbb00, v16
	v_mov_b32_e32 v20, v5
	ds_load_2addr_b32 v[108:109], v252 offset0:136 offset1:185
	ds_load_2addr_b32 v[124:125], v208 offset0:54 offset1:103
	;; [unrolled: 1-line block ×17, first 2 shown]
	global_wb scope:SCOPE_SE
	s_wait_loadcnt_dscnt 0x0
	s_barrier_signal -1
	s_barrier_wait -1
	global_inv scope:SCOPE_SE
	ds_store_2addr_b32 v152, v82, v4 offset1:49
	v_sub_f16_e32 v4, v88, v80
	v_fmac_f16_e32 v16, 0xb574, v0
	v_fma_f16 v0, v17, 0x3b00, -v2
	v_mul_f16_e32 v2, 0xbb00, v17
	v_add_f16_e32 v3, v3, v114
	v_fma_f16 v1, v4, 0x39e0, -v1
	v_fma_f16 v4, v4, 0xb9e0, -v123
	v_fmac_f16_e32 v16, 0x370e, v118
	v_fmac_f16_e32 v2, 0xb574, v120
	v_add_f16_e32 v17, v18, v114
	v_add_f16_e32 v1, v1, v61
	;; [unrolled: 1-line block ×3, first 2 shown]
	v_fmac_f16_e32 v7, 0x370e, v118
	v_fmac_f16_e32 v2, 0x370e, v119
	;; [unrolled: 1-line block ×3, first 2 shown]
	v_sub_f16_e32 v19, v3, v16
	v_add_f16_e32 v3, v16, v3
	v_lshrrev_b32_e32 v16, 16, v14
	v_add_f16_e32 v18, v2, v4
	v_sub_f16_e32 v2, v4, v2
	v_add_f16_e32 v61, v7, v17
	v_add_nc_u32_e32 v21, 0x800, v5
	v_lshlrev_b32_e32 v6, 2, v6
	v_pack_b32_f16 v18, v18, v19
	v_sub_f16_e32 v19, v1, v0
	v_add_f16_e32 v0, v0, v1
	v_sub_f16_e32 v1, v17, v7
	v_mul_f16_e64 v17, v16, v165
	v_mul_f16_e64 v7, v63, v188
	v_pack_b32_f16 v19, v19, v61
	v_lshrrev_b32_e32 v61, 16, v124
	v_pack_b32_f16 v0, v0, v1
	v_pack_b32_f16 v1, v2, v3
	v_lshrrev_b32_e32 v3, 16, v63
	v_fma_f16 v17, v14, v249, -v17
	v_mul_f16_e64 v14, v14, v165
	ds_store_2addr_b32 v152, v18, v19 offset0:98 offset1:147
	ds_store_2addr_b32 v152, v0, v1 offset0:196 offset1:245
	v_lshrrev_b32_e32 v0, 16, v60
	v_mul_f16_e64 v2, v60, v184
	v_mul_f16_e64 v4, v3, v188
	v_fmac_f16_e64 v14, v16, v249
	v_lshrrev_b32_e32 v16, 16, v108
	v_mul_f16_e64 v1, v0, v184
	v_mul_f16_e64 v18, v108, v177
	v_lshrrev_b32_e32 v19, 16, v126
	v_fma_f16 v4, v63, v215, -v4
	v_mul_f16_e64 v63, v124, v183
	v_fma_f16 v1, v60, v213, -v1
	v_mul_f16_e64 v60, v126, v162
	v_fmac_f16_e64 v18, v16, v212
	v_mul_f16_e64 v16, v16, v177
	v_fmac_f16_e64 v2, v0, v213
	v_fmac_f16_e64 v63, v61, v214
	;; [unrolled: 1-line block ×3, first 2 shown]
	v_mul_f16_e64 v19, v19, v162
	v_mul_f16_e64 v61, v61, v183
	v_fma_f16 v16, v108, v212, -v16
	v_fmac_f16_e64 v7, v3, v215
	v_sub_f16_e32 v0, v81, v116
	v_fma_f16 v19, v126, v248, -v19
	v_fma_f16 v61, v124, v214, -v61
	v_add_f16_e32 v80, v16, v17
	v_add_f16_e32 v87, v18, v14
	;; [unrolled: 1-line block ×9, first 2 shown]
	v_sub_f16_e32 v1, v1, v19
	v_sub_f16_e32 v4, v4, v61
	v_pack_b32_f16 v0, v0, v3
	v_add_f16_e32 v110, v108, v110
	v_add_f16_e32 v85, v82, v85
	v_sub_f16_e32 v3, v18, v14
	v_sub_f16_e32 v2, v2, v60
	;; [unrolled: 1-line block ×3, first 2 shown]
	v_add_f16_e32 v86, v110, v86
	v_add_f16_e32 v62, v85, v62
	;; [unrolled: 1-line block ×3, first 2 shown]
	v_sub_f16_e32 v14, v81, v80
	v_sub_f16_e32 v60, v108, v88
	v_lshlrev_b32_e32 v111, 16, v86
	v_and_b32_e32 v112, 0xffff, v62
	v_sub_f16_e32 v63, v4, v1
	v_sub_f16_e32 v18, v88, v87
	;; [unrolled: 1-line block ×3, first 2 shown]
	v_fmac_f16_e32 v62, 0xbcab, v85
	v_or_b32_e32 v111, v111, v112
	v_fmac_f16_e32 v86, 0xbcab, v110
	scratch_store_b32 off, v21, off offset:400 ; 4-byte Folded Spill
	v_mul_f16_e32 v19, 0x3a52, v19
	v_add_nc_u32_e32 v171, 0x1000, v6
	ds_store_2addr_b32 v252, v0, v111 offset0:38 offset1:87
	v_sub_f16_e32 v0, v16, v17
	v_sub_f16_e32 v16, v80, v82
	;; [unrolled: 1-line block ×4, first 2 shown]
	v_fmamk_f16 v85, v60, 0x2b26, v19
	v_sub_f16_e32 v4, v0, v4
	v_mul_f16_e32 v16, 0x3a52, v16
	v_sub_f16_e32 v1, v1, v0
	v_add_f16_e32 v0, v61, v0
	v_add_f16_e32 v61, v7, v2
	v_sub_f16_e32 v2, v2, v3
	v_fmamk_f16 v82, v17, 0x2b26, v16
	v_mul_f16_e32 v17, 0x2b26, v17
	v_sub_f16_e32 v7, v3, v7
	v_add_f16_e32 v3, v61, v3
	v_mul_f16_e32 v61, 0xb846, v63
	v_mul_f16_e32 v63, 0xb846, v80
	;; [unrolled: 1-line block ×3, first 2 shown]
	v_fma_f16 v16, v14, 0xb9e0, -v16
	v_fma_f16 v14, v14, 0x39e0, -v17
	v_mul_f16_e32 v17, 0x2b26, v60
	v_mul_f16_e32 v80, 0xbb00, v1
	v_fmac_f16_e32 v81, 0xb574, v7
	v_fmamk_f16 v7, v7, 0x3574, v63
	v_fma_f16 v2, v2, 0x3b00, -v63
	v_fma_f16 v17, v18, 0x39e0, -v17
	;; [unrolled: 1-line block ×3, first 2 shown]
	v_fmac_f16_e32 v80, 0xb574, v4
	v_fmamk_f16 v4, v4, 0x3574, v61
	v_fmac_f16_e32 v7, 0x370e, v3
	v_fmac_f16_e32 v81, 0x370e, v3
	v_add_f16_e32 v14, v14, v62
	v_fmac_f16_e32 v2, 0x370e, v3
	v_add_f16_e32 v3, v17, v86
	v_fmac_f16_e32 v1, 0x370e, v0
	v_fmac_f16_e32 v4, 0x370e, v0
	v_fma_f16 v19, v18, 0xb9e0, -v19
	v_fmac_f16_e32 v80, 0x370e, v0
	v_sub_f16_e32 v0, v14, v2
	v_add_f16_e32 v2, v2, v14
	v_add_f16_e32 v14, v1, v3
	v_sub_f16_e32 v1, v3, v1
	v_add_f16_e32 v82, v82, v62
	v_add_f16_e32 v85, v85, v86
	v_add_f16_e32 v16, v16, v62
	v_add_f16_e32 v19, v19, v86
	v_pack_b32_f16 v0, v0, v14
	v_pack_b32_f16 v1, v2, v1
	v_sub_f16_e32 v2, v82, v7
	v_add_f16_e32 v3, v4, v85
	v_add_f16_e32 v87, v7, v82
	v_sub_f16_e32 v88, v85, v4
	ds_store_2addr_b32 v217, v0, v1 offset0:106 offset1:155
	v_sub_f16_e32 v0, v16, v81
	v_add_f16_e32 v1, v80, v19
	v_lshrrev_b32_e32 v14, 16, v127
	v_pack_b32_f16 v87, v87, v88
	v_add_f16_e32 v88, v81, v16
	v_sub_f16_e32 v108, v19, v80
	v_pack_b32_f16 v0, v0, v1
	v_pack_b32_f16 v1, v2, v3
	v_lshrrev_b32_e32 v3, 16, v125
	v_lshrrev_b32_e32 v63, 16, v128
	v_pack_b32_f16 v88, v88, v108
	v_and_b32_e32 v79, 0xffff, v79
	ds_store_2addr_b32 v181, v0, v1 offset0:76 offset1:125
	v_lshrrev_b32_e32 v0, 16, v109
	v_and_b32_e32 v15, 0xffff, v15
	ds_store_2addr_b32 v252, v87, v88 offset0:136 offset1:185
	s_add_nc_u64 s[2:3], s[4:5], 0x2584
	v_lshlrev_b32_e32 v15, 2, v15
	s_delay_alu instid0(VALU_DEP_1) | instskip(SKIP_3) | instid1(VALU_DEP_3)
	v_add_nc_u32_e32 v182, 0x2000, v15
	v_lshrrev_b32_e32 v17, 16, v192
	v_lshrrev_b32_e32 v2, 16, v56
	;; [unrolled: 1-line block ×3, first 2 shown]
	v_mul_f16_e32 v16, v14, v17
	v_mul_f16_e32 v17, v127, v17
	s_delay_alu instid0(VALU_DEP_4)
	v_mul_f16_e32 v1, v0, v2
	v_mul_f16_e32 v2, v109, v2
	;; [unrolled: 1-line block ×4, first 2 shown]
	v_fmac_f16_e64 v17, v14, v192
	v_lshrrev_b32_e32 v14, 16, v193
	v_fmac_f16_e32 v2, v0, v56
	v_lshrrev_b32_e32 v0, 16, v134
	v_fmac_f16_e32 v7, v3, v58
	v_fma_f16 v1, v109, v56, -v1
	v_mul_f16_e64 v3, v134, v14
	v_fma_f16 v16, v127, v192, -v16
	v_fma_f16 v4, v125, v58, -v4
	v_lshrrev_b32_e32 v253, 16, v49
	v_lshrrev_b32_e32 v247, 16, v51
	v_fmac_f16_e64 v3, v0, v193
	v_mul_f16_e32 v0, v0, v14
	v_lshrrev_b32_e32 v234, 16, v45
	v_lshrrev_b32_e32 v242, 16, v47
	;; [unrolled: 1-line block ×3, first 2 shown]
	v_add_f16_e32 v19, v2, v3
	v_fma_f16 v0, v134, v193, -v0
	v_sub_f16_e32 v60, v2, v3
	v_lshrrev_b32_e32 v2, 16, v57
	v_lshrrev_b32_e32 v180, 16, v40
	;; [unrolled: 1-line block ×3, first 2 shown]
	v_add_f16_e32 v14, v1, v0
	v_sub_f16_e32 v18, v1, v0
	v_lshrrev_b32_e32 v0, 16, v130
	v_mul_f16_e64 v1, v130, v2
	v_lshrrev_b32_e32 v186, 16, v42
	v_lshrrev_b32_e32 v216, 16, v102
	;; [unrolled: 1-line block ×4, first 2 shown]
	v_fmac_f16_e32 v1, v0, v57
	v_mul_f16_e32 v0, v0, v2
	v_lshrrev_b32_e32 v2, 16, v59
	s_delay_alu instid0(VALU_DEP_3) | instskip(NEXT) | instid1(VALU_DEP_3)
	v_add_f16_e32 v62, v1, v17
	v_fma_f16 v0, v130, v57, -v0
	v_sub_f16_e32 v17, v1, v17
	s_delay_alu instid0(VALU_DEP_4) | instskip(NEXT) | instid1(VALU_DEP_3)
	v_mul_f16_e64 v1, v132, v2
	v_add_f16_e32 v61, v0, v16
	v_sub_f16_e32 v16, v0, v16
	v_lshrrev_b32_e32 v0, 16, v132
	s_delay_alu instid0(VALU_DEP_3) | instskip(NEXT) | instid1(VALU_DEP_2)
	v_sub_f16_e32 v5, v61, v14
	v_fmac_f16_e32 v1, v0, v59
	v_mul_f16_e32 v0, v0, v2
	s_delay_alu instid0(VALU_DEP_2) | instskip(NEXT) | instid1(VALU_DEP_2)
	v_add_f16_e32 v3, v7, v1
	v_fma_f16 v0, v132, v59, -v0
	v_sub_f16_e32 v1, v1, v7
	v_add_f16_e32 v7, v62, v19
	s_delay_alu instid0(VALU_DEP_3) | instskip(SKIP_2) | instid1(VALU_DEP_4)
	v_add_f16_e32 v2, v4, v0
	v_sub_f16_e32 v0, v0, v4
	v_add_f16_e32 v4, v61, v14
	v_add_f16_e32 v7, v3, v7
	v_sub_f16_e32 v87, v1, v17
	v_sub_f16_e32 v88, v60, v1
	v_sub_f16_e32 v85, v0, v16
	v_add_f16_e32 v4, v2, v4
	v_add_f16_e32 v63, v7, v63
	v_sub_f16_e32 v86, v18, v0
	v_mul_f16_e32 v87, 0xb846, v87
	v_mul_f16_e32 v85, 0xb846, v85
	v_add_f16_e64 v80, v4, v128
	v_lshlrev_b32_e32 v81, 16, v63
	v_fmac_f16_e32 v63, 0xbcab, v7
	v_sub_f16_e32 v7, v2, v61
	s_delay_alu instid0(VALU_DEP_4)
	v_and_b32_e32 v82, 0xffff, v80
	v_fmac_f16_e32 v80, 0xbcab, v4
	v_sub_f16_e32 v4, v14, v2
	v_sub_f16_e32 v2, v19, v3
	;; [unrolled: 1-line block ×3, first 2 shown]
	v_or_b32_e32 v81, v81, v82
	v_sub_f16_e32 v82, v3, v62
	v_add_f16_e32 v3, v0, v16
	v_add_f16_e32 v0, v1, v17
	v_mul_f16_e32 v4, 0x3a52, v4
	v_sub_f16_e32 v16, v16, v18
	v_sub_f16_e32 v17, v17, v60
	v_add_f16_e32 v108, v3, v18
	v_add_f16_e32 v109, v0, v60
	v_fmamk_f16 v0, v7, 0x2b26, v4
	v_mul_f16_e32 v7, 0x2b26, v7
	v_mul_f16_e32 v110, 0x3a52, v2
	v_fma_f16 v4, v5, 0xb9e0, -v4
	v_fma_f16 v18, v16, 0x3b00, -v85
	v_mul_f16_e32 v16, 0xbb00, v16
	v_fma_f16 v7, v5, 0x39e0, -v7
	v_mul_f16_e32 v5, 0x2b26, v82
	;; [unrolled: 2-line block ×3, first 2 shown]
	v_fmamk_f16 v1, v82, 0x2b26, v110
	v_fmamk_f16 v2, v88, 0x3574, v87
	;; [unrolled: 1-line block ×3, first 2 shown]
	v_fma_f16 v5, v14, 0x39e0, -v5
	v_fma_f16 v14, v14, 0xb9e0, -v110
	v_fmac_f16_e32 v16, 0xb574, v86
	v_fmac_f16_e32 v17, 0xb574, v88
	v_add_f16_e32 v0, v0, v80
	v_add_f16_e32 v1, v1, v63
	v_fmac_f16_e32 v2, 0x370e, v109
	v_fmac_f16_e32 v3, 0x370e, v108
	v_add_f16_e32 v4, v4, v80
	v_add_f16_e32 v14, v14, v63
	v_fmac_f16_e32 v16, 0x370e, v108
	v_fmac_f16_e32 v17, 0x370e, v109
	v_add_f16_e32 v111, v2, v0
	v_sub_f16_e32 v112, v1, v3
	v_add_f16_e32 v7, v7, v80
	v_add_f16_e32 v5, v5, v63
	v_fmac_f16_e32 v18, 0x370e, v108
	v_fmac_f16_e32 v19, 0x370e, v109
	v_add_f16_e32 v60, v17, v4
	v_sub_f16_e32 v61, v14, v16
	v_pack_b32_f16 v111, v111, v112
	v_add_f16_e32 v62, v18, v5
	v_sub_f16_e32 v5, v5, v18
	v_sub_f16_e32 v4, v4, v17
	v_pack_b32_f16 v60, v60, v61
	v_sub_f16_e32 v61, v7, v19
	v_add_f16_e32 v7, v19, v7
	v_add_f16_e32 v14, v16, v14
	ds_store_2addr_b32 v21, v81, v111 offset0:174 offset1:223
	v_add_nc_u32_e32 v21, 0xc00, v20
	v_pack_b32_f16 v61, v61, v62
	v_pack_b32_f16 v5, v7, v5
	;; [unrolled: 1-line block ×3, first 2 shown]
	s_clause 0x1
	scratch_store_b32 off, v21, off offset:404
	scratch_store_b32 off, v20, off offset:440
	ds_store_2addr_b32 v21, v60, v61 offset0:16 offset1:65
	v_lshrrev_b32_e32 v7, 16, v53
	ds_store_2addr_b32 v21, v5, v4 offset0:114 offset1:163
	v_lshrrev_b32_e32 v21, 16, v197
	v_lshrrev_b32_e32 v4, 16, v131
	;; [unrolled: 1-line block ×5, first 2 shown]
	v_mul_f16_e64 v60, v135, v21
	v_mul_f16_e32 v5, v4, v7
	v_mul_f16_e64 v7, v131, v7
	v_mul_f16_e32 v16, v14, v17
	;; [unrolled: 2-line block ×3, first 2 shown]
	v_fmac_f16_e64 v60, v18, v197
	v_lshrrev_b32_e32 v18, 16, v52
	v_fmac_f16_e32 v7, v4, v53
	v_fmac_f16_e32 v17, v14, v55
	v_lshrrev_b32_e32 v4, 16, v136
	v_fma_f16 v19, v135, v197, -v19
	v_mul_f16_e64 v14, v136, v18
	v_lshrrev_b32_e32 v21, 16, v196
	v_fma_f16 v5, v131, v53, -v5
	v_fma_f16 v16, v133, v55, -v16
	v_lshrrev_b32_e32 v81, 16, v129
	v_fmac_f16_e32 v14, v4, v52
	v_mul_f16_e32 v4, v4, v18
	v_mul_f16_e64 v61, v140, v21
	scratch_store_b32 off, v23, off offset:412 ; 4-byte Folded Spill
	v_sub_f16_e32 v0, v0, v2
	v_add_f16_e32 v1, v3, v1
	v_fma_f16 v4, v136, v52, -v4
	s_delay_alu instid0(VALU_DEP_2) | instskip(NEXT) | instid1(VALU_DEP_2)
	v_pack_b32_f16 v0, v0, v1
	v_add_f16_e32 v18, v4, v19
	v_sub_f16_e32 v4, v4, v19
	v_add_f16_e32 v19, v14, v60
	v_sub_f16_e32 v14, v14, v60
	v_lshrrev_b32_e32 v60, 16, v140
	s_delay_alu instid0(VALU_DEP_1) | instskip(SKIP_2) | instid1(VALU_DEP_2)
	v_fmac_f16_e64 v61, v60, v196
	v_mul_f16_e32 v60, v60, v21
	v_lshrrev_b32_e32 v21, 16, v54
	v_fma_f16 v60, v140, v196, -v60
	s_delay_alu instid0(VALU_DEP_2) | instskip(NEXT) | instid1(VALU_DEP_2)
	v_mul_f16_e64 v63, v138, v21
	v_add_f16_e32 v62, v5, v60
	v_sub_f16_e32 v5, v5, v60
	v_add_f16_e32 v60, v7, v61
	v_sub_f16_e32 v7, v7, v61
	v_lshrrev_b32_e32 v61, 16, v138
	s_delay_alu instid0(VALU_DEP_3) | instskip(NEXT) | instid1(VALU_DEP_2)
	v_add_f16_e32 v85, v60, v19
	v_fmac_f16_e32 v63, v61, v54
	v_mul_f16_e32 v61, v61, v21
	v_mov_b32_e32 v21, v6
	v_sub_f16_e32 v6, v62, v18
	s_delay_alu instid0(VALU_DEP_3)
	v_fma_f16 v61, v138, v54, -v61
	scratch_store_b32 off, v21, off offset:436 ; 4-byte Folded Spill
	v_add_f16_e32 v80, v61, v16
	v_sub_f16_e32 v16, v16, v61
	v_add_f16_e32 v61, v63, v17
	v_sub_f16_e32 v17, v17, v63
	v_add_f16_e32 v63, v62, v18
	s_delay_alu instid0(VALU_DEP_4) | instskip(NEXT) | instid1(VALU_DEP_4)
	v_sub_f16_e32 v88, v16, v5
	v_add_f16_e32 v85, v61, v85
	s_delay_alu instid0(VALU_DEP_4) | instskip(NEXT) | instid1(VALU_DEP_4)
	v_sub_f16_e32 v109, v17, v7
	v_add_f16_e32 v63, v80, v63
	v_add_f16_e32 v108, v17, v7
	v_mul_f16_e32 v88, 0xb846, v88
	v_add_f16_e32 v81, v85, v81
	v_mul_f16_e32 v109, 0xb846, v109
	v_add_f16_e64 v82, v63, v129
	v_sub_f16_e32 v17, v14, v17
	v_add_f16_e32 v108, v108, v14
	v_lshlrev_b32_e32 v86, 16, v81
	v_fmac_f16_e32 v81, 0xbcab, v85
	v_and_b32_e32 v87, 0xffff, v82
	v_fmac_f16_e32 v82, 0xbcab, v63
	v_sub_f16_e32 v63, v18, v80
	v_sub_f16_e32 v80, v80, v62
	v_sub_f16_e32 v85, v19, v61
	v_or_b32_e32 v86, v86, v87
	v_add_f16_e32 v87, v16, v5
	v_sub_f16_e32 v16, v4, v16
	v_sub_f16_e32 v61, v61, v60
	;; [unrolled: 1-line block ×3, first 2 shown]
	v_mul_f16_e32 v63, 0x3a52, v63
	v_add_f16_e32 v87, v87, v4
	v_sub_f16_e32 v4, v5, v4
	v_sub_f16_e32 v5, v7, v14
	v_mul_f16_e32 v85, 0x3a52, v85
	v_fmamk_f16 v113, v16, 0x3574, v88
	v_mul_f16_e32 v7, 0x2b26, v80
	v_fma_f16 v19, v4, 0x3b00, -v88
	v_mul_f16_e32 v4, 0xbb00, v4
	v_mul_f16_e32 v14, 0x2b26, v61
	v_fmamk_f16 v112, v17, 0x3574, v109
	v_fma_f16 v7, v6, 0x39e0, -v7
	v_fma_f16 v6, v6, 0xb9e0, -v63
	v_fmac_f16_e32 v4, 0xb574, v16
	v_fma_f16 v16, v5, 0x3b00, -v109
	v_mul_f16_e32 v5, 0xbb00, v5
	v_fma_f16 v14, v18, 0x39e0, -v14
	v_fma_f16 v18, v18, 0xb9e0, -v85
	v_add_f16_e32 v6, v6, v82
	v_fmac_f16_e32 v4, 0x370e, v87
	v_fmac_f16_e32 v5, 0xb574, v17
	v_add_f16_e32 v7, v7, v82
	v_add_f16_e32 v17, v18, v81
	;; [unrolled: 1-line block ×3, first 2 shown]
	v_fmac_f16_e32 v19, 0x370e, v87
	v_fmac_f16_e32 v5, 0x370e, v108
	;; [unrolled: 1-line block ×3, first 2 shown]
	v_sub_f16_e32 v60, v17, v4
	v_fmamk_f16 v111, v61, 0x2b26, v85
	v_add_f16_e32 v61, v19, v14
	v_add_f16_e32 v18, v5, v6
	v_sub_f16_e32 v14, v14, v19
	v_sub_f16_e32 v5, v6, v5
	v_add_f16_e32 v4, v4, v17
	v_lshrrev_b32_e32 v17, 16, v141
	v_pack_b32_f16 v18, v18, v60
	v_sub_f16_e32 v60, v7, v16
	v_add_f16_e32 v7, v16, v7
	v_pack_b32_f16 v4, v5, v4
	v_lshrrev_b32_e32 v19, 16, v105
	v_lshrrev_b32_e32 v16, 16, v50
	v_pack_b32_f16 v60, v60, v61
	v_pack_b32_f16 v6, v7, v14
	v_lshrrev_b32_e32 v7, 16, v139
	v_mul_f16_e64 v62, v74, v247
	v_fmamk_f16 v110, v80, 0x2b26, v63
	ds_store_2addr_b32 v171, v18, v60 offset0:103 offset1:152
	ds_store_2addr_b32 v171, v6, v4 offset0:201 offset1:250
	v_lshrrev_b32_e32 v4, 16, v137
	v_lshrrev_b32_e32 v6, 16, v48
	v_mul_f16_e32 v18, v17, v19
	v_mul_f16_e64 v19, v141, v19
	v_mul_f16_e32 v14, v7, v16
	v_mul_f16_e64 v16, v139, v16
	;; [unrolled: 2-line block ×3, first 2 shown]
	v_fmac_f16_e32 v19, v17, v105
	v_lshrrev_b32_e32 v17, 16, v106
	v_fmac_f16_e32 v16, v7, v50
	v_fma_f16 v5, v137, v48, -v5
	v_fmac_f16_e32 v6, v4, v48
	v_lshrrev_b32_e32 v4, 16, v72
	v_mul_f16_e32 v7, v72, v17
	v_mul_f16_e64 v60, v76, v253
	v_fma_f16 v18, v141, v105, -v18
	v_fma_f16 v14, v139, v50, -v14
	v_add_f16_e32 v111, v111, v81
	v_fmac_f16_e32 v7, v4, v106
	v_mul_f16_e32 v4, v4, v17
	v_add_f16_e32 v110, v110, v82
	v_fmac_f16_e32 v112, 0x370e, v108
	v_fmac_f16_e32 v113, 0x370e, v87
	s_delay_alu instid0(VALU_DEP_4) | instskip(NEXT) | instid1(VALU_DEP_3)
	v_fma_f16 v4, v72, v106, -v4
	v_add_f16_e32 v114, v112, v110
	s_delay_alu instid0(VALU_DEP_3) | instskip(SKIP_1) | instid1(VALU_DEP_4)
	v_sub_f16_e32 v115, v111, v113
	v_sub_f16_e32 v2, v110, v112
	v_add_f16_e32 v17, v5, v4
	v_sub_f16_e32 v4, v5, v4
	v_add_f16_e32 v5, v6, v7
	v_sub_f16_e32 v6, v6, v7
	v_lshrrev_b32_e32 v7, 16, v76
	v_pack_b32_f16 v114, v114, v115
	v_add_f16_e32 v3, v113, v111
	s_delay_alu instid0(VALU_DEP_3) | instskip(SKIP_4) | instid1(VALU_DEP_1)
	v_fmac_f16_e32 v60, v7, v49
	v_mul_f16_e64 v7, v7, v253
	ds_store_2addr_b32 v171, v86, v114 offset0:5 offset1:54
	v_pack_b32_f16 v1, v2, v3
	v_fma_f16 v7, v76, v49, -v7
	v_add_f16_e32 v61, v7, v18
	v_sub_f16_e32 v7, v7, v18
	v_add_f16_e32 v18, v60, v19
	v_sub_f16_e32 v19, v60, v19
	v_lshrrev_b32_e32 v60, 16, v74
	s_delay_alu instid0(VALU_DEP_3) | instskip(NEXT) | instid1(VALU_DEP_2)
	v_add_f16_e32 v72, v18, v5
	v_fmac_f16_e32 v62, v60, v51
	v_mul_f16_e64 v60, v60, v247
	s_delay_alu instid0(VALU_DEP_1) | instskip(SKIP_1) | instid1(VALU_DEP_2)
	v_fma_f16 v60, v74, v51, -v60
	v_lshrrev_b32_e32 v74, 16, v70
	v_add_f16_e32 v63, v14, v60
	v_sub_f16_e32 v14, v60, v14
	v_add_f16_e32 v60, v16, v62
	v_sub_f16_e32 v16, v62, v16
	v_add_f16_e32 v62, v61, v17
	s_delay_alu instid0(VALU_DEP_4) | instskip(NEXT) | instid1(VALU_DEP_4)
	v_sub_f16_e32 v81, v14, v7
	v_add_f16_e32 v72, v60, v72
	s_delay_alu instid0(VALU_DEP_4) | instskip(NEXT) | instid1(VALU_DEP_4)
	v_add_f16_e32 v82, v16, v19
	v_add_f16_e32 v62, v63, v62
	v_sub_f16_e32 v85, v16, v19
	v_mul_f16_e32 v81, 0xb846, v81
	v_add_f16_e32 v74, v72, v74
	v_sub_f16_e32 v16, v6, v16
	v_add_f16_e32 v70, v62, v70
	v_add_f16_e32 v82, v82, v6
	v_mul_f16_e32 v85, 0xb846, v85
	v_lshlrev_b32_e32 v76, 16, v74
	v_fmac_f16_e32 v74, 0xbcab, v72
	v_and_b32_e32 v80, 0xffff, v70
	v_fmac_f16_e32 v70, 0xbcab, v62
	v_sub_f16_e32 v62, v17, v63
	v_sub_f16_e32 v63, v63, v61
	;; [unrolled: 1-line block ×3, first 2 shown]
	v_or_b32_e32 v76, v76, v80
	v_add_f16_e32 v80, v14, v7
	v_sub_f16_e32 v14, v4, v14
	v_sub_f16_e32 v60, v60, v18
	;; [unrolled: 1-line block ×3, first 2 shown]
	v_mul_f16_e32 v62, 0x3a52, v62
	v_add_f16_e32 v80, v80, v4
	v_sub_f16_e32 v4, v7, v4
	v_mul_f16_e32 v72, 0x3a52, v72
	v_fmamk_f16 v108, v14, 0x3574, v81
	v_sub_f16_e32 v17, v61, v17
	v_sub_f16_e32 v5, v18, v5
	v_fma_f16 v19, v4, 0x3b00, -v81
	v_mul_f16_e32 v4, 0xbb00, v4
	v_mul_f16_e32 v7, 0x2b26, v63
	;; [unrolled: 1-line block ×3, first 2 shown]
	v_fmamk_f16 v86, v63, 0x2b26, v62
	v_fmamk_f16 v87, v60, 0x2b26, v72
	v_fmac_f16_e32 v4, 0xb574, v14
	v_fma_f16 v14, v6, 0x3b00, -v85
	v_mul_f16_e32 v6, 0xbb00, v6
	v_fma_f16 v7, v17, 0x39e0, -v7
	v_fma_f16 v17, v17, 0xb9e0, -v62
	;; [unrolled: 1-line block ×4, first 2 shown]
	v_fmac_f16_e32 v6, 0xb574, v16
	v_fmamk_f16 v88, v16, 0x3574, v85
	v_add_f16_e32 v16, v17, v70
	v_fmac_f16_e32 v4, 0x370e, v80
	v_add_f16_e32 v5, v5, v74
	v_fmac_f16_e32 v6, 0x370e, v82
	v_add_f16_e32 v86, v86, v70
	v_add_f16_e32 v87, v87, v74
	v_fmac_f16_e32 v88, 0x370e, v82
	v_fmac_f16_e32 v108, 0x370e, v80
	v_add_f16_e32 v7, v7, v70
	v_add_f16_e32 v17, v18, v74
	v_fmac_f16_e32 v19, 0x370e, v80
	v_fmac_f16_e32 v14, 0x370e, v82
	v_add_f16_e32 v18, v6, v16
	v_sub_f16_e32 v60, v5, v4
	v_add_f16_e32 v109, v88, v86
	v_sub_f16_e32 v114, v87, v108
	;; [unrolled: 2-line block ×3, first 2 shown]
	v_pack_b32_f16 v18, v18, v60
	v_sub_f16_e32 v60, v7, v14
	v_add_f16_e32 v7, v14, v7
	v_sub_f16_e32 v14, v17, v19
	v_add_f16_e32 v4, v4, v5
	v_pack_b32_f16 v109, v109, v114
	v_pack_b32_f16 v60, v60, v61
	v_mul_f16_e64 v16, v75, v242
	v_pack_b32_f16 v5, v7, v14
	v_pack_b32_f16 v4, v6, v4
	v_add_nc_u32_e32 v6, 0x1800, v22
	ds_store_2addr_b32 v23, v76, v109 offset0:92 offset1:141
	ds_store_2addr_b32 v23, v18, v60 offset0:190 offset1:239
	s_clause 0x1
	scratch_store_b32 off, v6, off offset:408
	scratch_store_b32 off, v22, off offset:432
	ds_store_2addr_b32 v6, v5, v4 offset0:32 offset1:81
	v_lshrrev_b32_e32 v4, 16, v77
	v_mul_f16_e64 v6, v77, v234
	v_lshrrev_b32_e32 v7, 16, v75
	v_lshrrev_b32_e32 v17, 16, v73
	;; [unrolled: 1-line block ×3, first 2 shown]
	v_mul_f16_e64 v5, v4, v234
	v_fmac_f16_e32 v6, v4, v45
	v_mul_f16_e64 v14, v7, v242
	v_fmac_f16_e32 v16, v7, v47
	v_lshrrev_b32_e32 v4, 16, v68
	v_mul_f16_e64 v7, v68, v228
	v_mul_f16_e32 v18, v17, v19
	v_mul_f16_e32 v19, v73, v19
	v_lshrrev_b32_e32 v23, 16, v103
	v_fma_f16 v5, v77, v45, -v5
	v_fmac_f16_e32 v7, v4, v44
	v_mul_f16_e64 v4, v4, v228
	v_fma_f16 v18, v73, v104, -v18
	v_fmac_f16_e32 v19, v17, v104
	v_mul_f16_e32 v60, v64, v23
	v_fma_f16 v14, v75, v47, -v14
	v_fma_f16 v4, v68, v44, -v4
	s_delay_alu instid0(VALU_DEP_1) | instskip(SKIP_4) | instid1(VALU_DEP_1)
	v_add_f16_e32 v17, v4, v18
	v_sub_f16_e32 v4, v4, v18
	v_add_f16_e32 v18, v7, v19
	v_sub_f16_e32 v7, v7, v19
	v_lshrrev_b32_e32 v19, 16, v64
	v_fmac_f16_e32 v60, v19, v103
	v_mul_f16_e32 v19, v19, v23
	v_lshrrev_b32_e32 v23, 16, v46
	s_delay_alu instid0(VALU_DEP_2) | instskip(NEXT) | instid1(VALU_DEP_2)
	v_fma_f16 v19, v64, v103, -v19
	v_mul_f16_e32 v62, v66, v23
	v_lshrrev_b32_e32 v64, 16, v71
	s_delay_alu instid0(VALU_DEP_3) | instskip(SKIP_4) | instid1(VALU_DEP_3)
	v_add_f16_e32 v61, v5, v19
	v_sub_f16_e32 v5, v5, v19
	v_add_f16_e32 v19, v6, v60
	v_sub_f16_e32 v6, v6, v60
	v_lshrrev_b32_e32 v60, 16, v66
	v_add_f16_e32 v68, v19, v18
	s_delay_alu instid0(VALU_DEP_2) | instskip(SKIP_2) | instid1(VALU_DEP_2)
	v_fmac_f16_e32 v62, v60, v46
	v_mul_f16_e32 v60, v60, v23
	v_lshlrev_b32_e32 v23, 2, v79
	v_fma_f16 v60, v66, v46, -v60
	s_delay_alu instid0(VALU_DEP_2) | instskip(NEXT) | instid1(VALU_DEP_2)
	v_add_nc_u32_e32 v79, 0x1800, v23
	v_add_f16_e32 v63, v60, v14
	v_sub_f16_e32 v14, v14, v60
	v_add_f16_e32 v60, v62, v16
	v_sub_f16_e32 v16, v16, v62
	v_add_f16_e32 v62, v61, v17
	scratch_store_b32 off, v79, off offset:416 ; 4-byte Folded Spill
	v_sub_f16_e32 v72, v14, v5
	v_add_f16_e32 v68, v60, v68
	v_sub_f16_e32 v74, v16, v6
	v_add_f16_e32 v62, v63, v62
	v_add_f16_e32 v73, v16, v6
	v_mul_f16_e32 v72, 0xb846, v72
	v_add_f16_e32 v64, v68, v64
	v_mul_f16_e32 v74, 0xb846, v74
	v_add_f16_e32 v66, v62, v71
	v_sub_f16_e32 v16, v7, v16
	v_add_f16_e32 v73, v73, v7
	v_lshlrev_b32_e32 v70, 16, v64
	v_fmac_f16_e32 v64, 0xbcab, v68
	v_and_b32_e32 v71, 0xffff, v66
	v_fmac_f16_e32 v66, 0xbcab, v62
	v_sub_f16_e32 v62, v17, v63
	v_sub_f16_e32 v63, v63, v61
	;; [unrolled: 1-line block ×3, first 2 shown]
	v_or_b32_e32 v70, v70, v71
	v_add_f16_e32 v71, v14, v5
	v_sub_f16_e32 v14, v4, v14
	v_sub_f16_e32 v60, v60, v19
	v_mul_f16_e32 v62, 0x3a52, v62
	v_sub_f16_e32 v17, v61, v17
	v_add_f16_e32 v71, v71, v4
	v_sub_f16_e32 v4, v5, v4
	v_sub_f16_e32 v18, v19, v18
	;; [unrolled: 1-line block ×3, first 2 shown]
	v_mul_f16_e32 v6, 0x2b26, v63
	v_mul_f16_e32 v68, 0x3a52, v68
	v_fma_f16 v19, v4, 0x3b00, -v72
	v_mul_f16_e32 v4, 0xbb00, v4
	v_fmamk_f16 v80, v14, 0x3574, v72
	v_fma_f16 v6, v17, 0x39e0, -v6
	v_fma_f16 v7, v17, 0xb9e0, -v62
	v_mul_f16_e32 v17, 0x2b26, v60
	v_fmac_f16_e32 v4, 0xb574, v14
	v_fma_f16 v14, v5, 0x3b00, -v74
	v_mul_f16_e32 v5, 0xbb00, v5
	v_fmamk_f16 v75, v63, 0x2b26, v62
	v_fma_f16 v17, v18, 0x39e0, -v17
	v_fma_f16 v18, v18, 0xb9e0, -v68
	v_fmamk_f16 v76, v60, 0x2b26, v68
	v_fmac_f16_e32 v5, 0xb574, v16
	v_fmamk_f16 v77, v16, 0x3574, v74
	v_add_f16_e32 v7, v7, v66
	v_add_f16_e32 v16, v17, v64
	;; [unrolled: 1-line block ×3, first 2 shown]
	v_fmac_f16_e32 v4, 0x370e, v71
	v_fmac_f16_e32 v5, 0x370e, v73
	v_add_f16_e32 v75, v75, v66
	v_add_f16_e32 v76, v76, v64
	v_fmac_f16_e32 v77, 0x370e, v73
	v_fmac_f16_e32 v80, 0x370e, v71
	v_add_f16_e32 v6, v6, v66
	v_fmac_f16_e32 v19, 0x370e, v71
	v_fmac_f16_e32 v14, 0x370e, v73
	v_add_f16_e32 v18, v5, v7
	v_sub_f16_e32 v60, v17, v4
	v_add_f16_e32 v81, v77, v75
	v_sub_f16_e32 v82, v76, v80
	;; [unrolled: 2-line block ×3, first 2 shown]
	v_pack_b32_f16 v18, v18, v60
	v_sub_f16_e32 v60, v6, v14
	v_add_f16_e32 v6, v14, v6
	v_sub_f16_e32 v14, v16, v19
	v_add_f16_e32 v4, v4, v17
	v_pack_b32_f16 v81, v81, v82
	v_pack_b32_f16 v60, v60, v61
	v_add_nc_u32_e32 v61, 0x1c00, v23
	v_pack_b32_f16 v6, v6, v14
	v_pack_b32_f16 v4, v5, v4
	v_lshrrev_b32_e32 v7, 16, v12
	ds_store_2addr_b32 v79, v70, v81 offset0:179 offset1:228
	s_clause 0x1
	scratch_store_b32 off, v61, off offset:420
	scratch_store_b32 off, v23, off offset:424
	ds_store_2addr_b32 v61, v18, v60 offset0:21 offset1:70
	ds_store_2addr_b32 v61, v6, v4 offset0:119 offset1:168
	v_lshrrev_b32_e32 v4, 16, v69
	v_mul_f16_e64 v6, v69, v180
	v_mul_f16_e64 v14, v7, v185
	v_lshrrev_b32_e32 v16, 16, v67
	v_mul_f16_e64 v18, v67, v186
	v_lshrrev_b32_e32 v61, 16, v13
	v_mul_f16_e64 v5, v4, v180
	v_fma_f16 v14, v12, v41, -v14
	v_mul_f16_e64 v12, v12, v185
	v_mul_f16_e64 v17, v16, v186
	v_fmac_f16_e32 v6, v4, v40
	v_fmac_f16_e32 v18, v16, v42
	v_lshrrev_b32_e32 v4, 16, v11
	v_lshrrev_b32_e32 v16, 16, v65
	v_mul_f16_e64 v62, v61, v216
	v_fmac_f16_e32 v12, v7, v41
	v_mul_f16_e64 v60, v65, v209
	v_mul_f16_e64 v7, v4, v189
	;; [unrolled: 1-line block ×3, first 2 shown]
	v_fma_f16 v62, v13, v102, -v62
	v_mul_f16_e64 v13, v13, v216
	v_fma_f16 v5, v69, v40, -v5
	v_fma_f16 v7, v11, v43, -v7
	v_mul_f16_e64 v11, v11, v189
	v_fma_f16 v19, v65, v101, -v19
	v_fmac_f16_e32 v13, v61, v102
	v_fmac_f16_e32 v60, v16, v101
	v_fma_f16 v17, v67, v42, -v17
	v_fmac_f16_e32 v11, v4, v43
	v_add_f16_e32 v4, v5, v62
	v_add_f16_e32 v16, v6, v13
	v_sub_f16_e32 v6, v6, v13
	v_add_f16_e32 v13, v14, v19
	v_sub_f16_e32 v14, v14, v19
	;; [unrolled: 2-line block ×3, first 2 shown]
	v_sub_f16_e32 v12, v12, v60
	v_add_f16_e32 v60, v17, v7
	v_sub_f16_e32 v7, v7, v17
	v_add_f16_e32 v17, v18, v11
	;; [unrolled: 2-line block ×3, first 2 shown]
	v_add_f16_e32 v62, v19, v16
	v_lshrrev_b32_e32 v61, 16, v10
	v_sub_f16_e32 v65, v7, v14
	v_sub_f16_e32 v67, v11, v12
	v_add_f16_e32 v18, v60, v18
	v_add_f16_e32 v62, v17, v62
	;; [unrolled: 1-line block ×3, first 2 shown]
	v_sub_f16_e32 v11, v6, v11
	v_mul_f16_e32 v65, 0xb846, v65
	v_add_f16_e32 v10, v18, v10
	v_add_f16_e32 v61, v62, v61
	v_mul_f16_e32 v67, 0xb846, v67
	v_add_f16_e32 v66, v66, v6
	v_sub_f16_e32 v6, v12, v6
	v_and_b32_e32 v64, 0xffff, v10
	v_lshlrev_b32_e32 v63, 16, v61
	v_fmac_f16_e32 v10, 0xbcab, v18
	v_fmac_f16_e32 v61, 0xbcab, v62
	v_sub_f16_e32 v18, v4, v60
	v_sub_f16_e32 v62, v16, v17
	v_or_b32_e32 v63, v63, v64
	v_sub_f16_e32 v60, v60, v13
	v_sub_f16_e32 v17, v17, v19
	v_add_f16_e32 v64, v7, v14
	v_sub_f16_e32 v7, v5, v7
	v_mul_f16_e32 v18, 0x3a52, v18
	v_mul_f16_e32 v62, 0x3a52, v62
	v_fmamk_f16 v70, v11, 0x3574, v67
	v_add_f16_e32 v64, v64, v5
	v_fmamk_f16 v71, v7, 0x3574, v65
	v_fmamk_f16 v68, v60, 0x2b26, v18
	;; [unrolled: 1-line block ×3, first 2 shown]
	v_fmac_f16_e32 v70, 0x370e, v66
	v_sub_f16_e32 v5, v14, v5
	v_fmac_f16_e32 v71, 0x370e, v64
	v_add_f16_e32 v68, v68, v10
	v_add_f16_e32 v69, v69, v61
	v_sub_f16_e32 v4, v13, v4
	v_sub_f16_e32 v13, v19, v16
	v_mul_f16_e32 v12, 0x2b26, v60
	v_add_f16_e32 v72, v70, v68
	v_sub_f16_e32 v73, v69, v71
	v_mul_f16_e32 v14, 0x2b26, v17
	s_delay_alu instid0(VALU_DEP_4) | instskip(SKIP_1) | instid1(VALU_DEP_4)
	v_fma_f16 v12, v4, 0x39e0, -v12
	v_fma_f16 v4, v4, 0xb9e0, -v18
	v_pack_b32_f16 v72, v72, v73
	v_mov_b32_e32 v73, v15
	v_fma_f16 v15, v5, 0x3b00, -v65
	v_mul_f16_e32 v5, 0xbb00, v5
	v_fma_f16 v14, v13, 0x39e0, -v14
	v_fma_f16 v13, v13, 0xb9e0, -v62
	v_add_f16_e32 v4, v4, v10
	v_fmac_f16_e32 v15, 0x370e, v64
	v_fmac_f16_e32 v5, 0xb574, v7
	v_fma_f16 v7, v6, 0x3b00, -v67
	v_mul_f16_e32 v6, 0xbb00, v6
	scratch_store_b32 off, v73, off offset:428 ; 4-byte Folded Spill
	ds_store_2addr_b32 v182, v63, v72 offset0:10 offset1:59
	v_fmac_f16_e32 v5, 0x370e, v64
	v_fmac_f16_e32 v7, 0x370e, v66
	;; [unrolled: 1-line block ×3, first 2 shown]
	v_add_f16_e32 v11, v12, v10
	v_add_f16_e32 v12, v13, v61
	;; [unrolled: 1-line block ×3, first 2 shown]
	s_delay_alu instid0(VALU_DEP_4) | instskip(NEXT) | instid1(VALU_DEP_3)
	v_fmac_f16_e32 v6, 0x370e, v66
	v_sub_f16_e32 v14, v12, v5
	s_delay_alu instid0(VALU_DEP_3) | instskip(SKIP_1) | instid1(VALU_DEP_4)
	v_add_f16_e32 v16, v15, v10
	v_sub_f16_e32 v10, v10, v15
	v_add_f16_e32 v13, v6, v4
	v_sub_f16_e32 v4, v4, v6
	v_add_f16_e32 v5, v5, v12
	s_delay_alu instid0(VALU_DEP_3) | instskip(SKIP_2) | instid1(VALU_DEP_4)
	v_pack_b32_f16 v13, v13, v14
	v_sub_f16_e32 v14, v11, v7
	v_add_f16_e32 v7, v7, v11
	v_pack_b32_f16 v4, v4, v5
	v_add_f16_e32 v5, v108, v87
	v_add_f16_e32 v11, v71, v69
	v_pack_b32_f16 v14, v14, v16
	v_pack_b32_f16 v6, v7, v10
	v_add_f16_e32 v7, v80, v76
	v_sub_f16_e32 v10, v68, v70
	ds_store_2addr_b32 v182, v13, v14 offset0:108 offset1:157
	ds_store_2addr_b32 v182, v6, v4 offset0:206 offset1:255
	v_sub_f16_e32 v4, v86, v88
	v_sub_f16_e32 v6, v75, v77
	v_mad_co_u64_u32 v[76:77], null, v78, 24, s[6:7]
	s_delay_alu instid0(VALU_DEP_3) | instskip(NEXT) | instid1(VALU_DEP_3)
	v_pack_b32_f16 v2, v4, v5
	v_pack_b32_f16 v3, v6, v7
	;; [unrolled: 1-line block ×3, first 2 shown]
	ds_store_b32 v20, v0 offset:3920
	ds_store_b32 v21, v1 offset:5292
	;; [unrolled: 1-line block ×5, first 2 shown]
	global_wb scope:SCOPE_SE
	s_wait_storecnt_dscnt 0x0
	s_barrier_signal -1
	s_barrier_wait -1
	global_inv scope:SCOPE_SE
	s_clause 0x1
	global_load_b64 v[230:231], v[8:9], off offset:1360
	global_load_b128 v[219:222], v[8:9], off offset:1344
	s_wait_loadcnt 0x1
	v_lshrrev_b32_e32 v11, 16, v231
	s_wait_loadcnt 0x0
	v_lshrrev_b32_e32 v4, 16, v220
	v_lshrrev_b32_e32 v10, 16, v222
	s_delay_alu instid0(VALU_DEP_3)
	v_mov_b32_e32 v14, v11
	ds_load_2addr_b32 v[0:1], v181 offset0:174 offset1:223
	s_clause 0x1
	global_load_b64 v[244:245], v[76:77], off offset:1360
	global_load_b128 v[107:110], v[76:77], off offset:1344
	ds_load_2addr_b32 v[121:122], v252 offset0:38 offset1:87
	ds_load_2addr_b32 v[112:113], v152 offset1:49
	ds_load_2addr_b32 v[65:66], v252 offset0:136 offset1:185
	ds_load_2addr_b32 v[63:64], v246 offset0:100 offset1:149
	;; [unrolled: 1-line block ×3, first 2 shown]
	s_wait_dscnt 0x5
	v_lshrrev_b32_e32 v2, 16, v0
	v_mul_f16_e32 v3, v0, v4
	s_delay_alu instid0(VALU_DEP_1) | instskip(SKIP_2) | instid1(VALU_DEP_2)
	v_fmac_f16_e64 v3, v2, v220
	v_mul_f16_e32 v2, v2, v4
	v_lshrrev_b32_e32 v4, 16, v1
	v_fma_f16 v2, v0, v220, -v2
	s_wait_loadcnt 0x1
	v_lshrrev_b32_e32 v13, 16, v245
	s_wait_loadcnt 0x0
	v_lshrrev_b32_e32 v5, 16, v108
	v_lshrrev_b32_e32 v9, 16, v110
	s_delay_alu instid0(VALU_DEP_2) | instskip(SKIP_1) | instid1(VALU_DEP_2)
	v_mul_f16_e32 v0, v4, v5
	v_mul_f16_e32 v70, v1, v5
	v_fma_f16 v69, v1, v108, -v0
	ds_load_2addr_b32 v[0:1], v223 offset0:92 offset1:141
	v_fmac_f16_e32 v70, v4, v108
	s_wait_dscnt 0x0
	v_lshrrev_b32_e32 v5, 16, v0
	v_lshrrev_b32_e32 v7, 16, v1
	v_mul_f16_e32 v72, v1, v9
	s_delay_alu instid0(VALU_DEP_3) | instskip(NEXT) | instid1(VALU_DEP_3)
	v_mul_f16_e32 v6, v5, v10
	v_mul_f16_e32 v8, v7, v9
	s_delay_alu instid0(VALU_DEP_3) | instskip(NEXT) | instid1(VALU_DEP_3)
	v_fmac_f16_e32 v72, v7, v110
	v_fma_f16 v6, v0, v222, -v6
	s_delay_alu instid0(VALU_DEP_3) | instskip(SKIP_4) | instid1(VALU_DEP_1)
	v_fma_f16 v71, v1, v110, -v8
	v_mul_f16_e32 v8, v0, v10
	ds_load_2addr_b32 v[0:1], v187 offset0:10 offset1:59
	v_fmac_f16_e64 v8, v5, v222
	v_lshrrev_b32_e32 v5, 16, v219
	v_mul_f16_e32 v4, v122, v5
	s_wait_dscnt 0x0
	v_lshrrev_b32_e32 v9, 16, v0
	v_mul_f16_e32 v74, v1, v13
	s_delay_alu instid0(VALU_DEP_2) | instskip(SKIP_1) | instid1(VALU_DEP_2)
	v_mul_f16_e32 v10, v9, v11
	v_lshrrev_b32_e32 v11, 16, v1
	v_fma_f16 v10, v0, v231, -v10
	s_delay_alu instid0(VALU_DEP_2) | instskip(SKIP_2) | instid1(VALU_DEP_3)
	v_mul_f16_e32 v12, v11, v13
	v_mul_f16_e32 v0, v0, v14
	v_fmac_f16_e64 v74, v11, v245
	v_fma_f16 v73, v1, v245, -v12
	v_lshrrev_b32_e32 v1, 16, v122
	s_delay_alu instid0(VALU_DEP_4) | instskip(SKIP_1) | instid1(VALU_DEP_3)
	v_fmac_f16_e64 v0, v9, v231
	v_lshrrev_b32_e32 v12, 16, v221
	v_fmac_f16_e64 v4, v1, v219
	v_mul_f16_e32 v1, v1, v5
	s_delay_alu instid0(VALU_DEP_2) | instskip(NEXT) | instid1(VALU_DEP_2)
	v_add_f16_e32 v7, v4, v0
	v_fma_f16 v1, v122, v219, -v1
	ds_load_2addr_b32 v[122:123], v194 offset0:130 offset1:179
	v_sub_f16_e32 v0, v4, v0
	v_add_f16_e32 v5, v1, v10
	v_sub_f16_e32 v1, v1, v10
	v_lshrrev_b32_e32 v10, 16, v230
	s_wait_dscnt 0x0
	v_lshrrev_b32_e32 v4, 16, v123
	s_delay_alu instid0(VALU_DEP_2) | instskip(NEXT) | instid1(VALU_DEP_1)
	v_mul_f16_e32 v9, v123, v10
	v_fmac_f16_e64 v9, v4, v230
	v_mul_f16_e32 v4, v4, v10
	s_delay_alu instid0(VALU_DEP_1)
	v_fma_f16 v4, v123, v230, -v4
	ds_load_2addr_b32 v[123:124], v94 offset0:84 offset1:133
	v_add_f16_e32 v10, v2, v4
	v_sub_f16_e32 v2, v2, v4
	v_add_f16_e32 v4, v3, v9
	v_sub_f16_e32 v3, v3, v9
	s_delay_alu instid0(VALU_DEP_4) | instskip(NEXT) | instid1(VALU_DEP_3)
	v_sub_f16_e32 v13, v10, v5
	v_sub_f16_e32 v14, v4, v7
	s_wait_dscnt 0x0
	v_lshrrev_b32_e32 v9, 16, v124
	v_mul_f16_e32 v11, v124, v12
	s_delay_alu instid0(VALU_DEP_1) | instskip(SKIP_1) | instid1(VALU_DEP_1)
	v_fmac_f16_e64 v11, v9, v221
	v_mul_f16_e32 v9, v9, v12
	v_fma_f16 v9, v124, v221, -v9
	s_delay_alu instid0(VALU_DEP_1)
	v_add_f16_e32 v12, v9, v6
	v_sub_f16_e32 v6, v6, v9
	v_add_f16_e32 v9, v11, v8
	v_sub_f16_e32 v8, v8, v11
	;; [unrolled: 2-line block ×3, first 2 shown]
	v_sub_f16_e32 v10, v12, v10
	v_sub_f16_e32 v15, v6, v2
	;; [unrolled: 1-line block ×3, first 2 shown]
	v_add_f16_e32 v11, v12, v11
	v_add_f16_e32 v12, v4, v7
	v_sub_f16_e32 v7, v7, v9
	v_sub_f16_e32 v4, v9, v4
	v_mul_f16_e32 v5, 0x3a52, v5
	v_add_f16_e32 v17, v11, v112
	v_add_f16_e32 v9, v9, v12
	;; [unrolled: 1-line block ×3, first 2 shown]
	v_sub_f16_e32 v6, v1, v6
	v_sub_f16_e32 v2, v2, v1
	v_and_b32_e32 v19, 0xffff, v17
	v_fmac_f16_e32 v17, 0xbcab, v11
	v_add_f16_e32 v1, v12, v1
	v_add_f16_e32 v12, v8, v3
	v_sub_f16_e32 v8, v0, v8
	v_sub_f16_e32 v3, v3, v0
	v_mul_f16_e32 v7, 0x3a52, v7
	v_mul_f16_e32 v11, 0x2b26, v4
	v_add_f16_e32 v0, v12, v0
	v_lshrrev_b32_e32 v12, 16, v112
	s_delay_alu instid0(VALU_DEP_4) | instskip(NEXT) | instid1(VALU_DEP_4)
	v_fmamk_f16 v4, v4, 0x2b26, v7
	v_fma_f16 v11, v14, 0x39e0, -v11
	v_fma_f16 v7, v14, 0xb9e0, -v7
	s_delay_alu instid0(VALU_DEP_4) | instskip(SKIP_1) | instid1(VALU_DEP_2)
	v_add_f16_e32 v12, v9, v12
	v_mul_f16_e32 v14, 0xbb00, v2
	v_lshlrev_b32_e32 v18, 16, v12
	v_fmac_f16_e32 v12, 0xbcab, v9
	v_mul_f16_e32 v9, 0x2b26, v10
	v_fmamk_f16 v10, v10, 0x2b26, v5
	v_fma_f16 v5, v13, 0xb9e0, -v5
	v_fmac_f16_e32 v14, 0xb574, v6
	v_add_f16_e32 v4, v4, v12
	v_fma_f16 v9, v13, 0x39e0, -v9
	v_mul_f16_e32 v13, 0xb846, v15
	v_mul_f16_e32 v15, 0xbb00, v3
	v_add_f16_e32 v5, v5, v17
	v_fmac_f16_e32 v14, 0x370e, v1
	v_add_f16_e32 v9, v9, v17
	v_fma_f16 v2, v2, 0x3b00, -v13
	v_fmamk_f16 v13, v6, 0x3574, v13
	v_mul_f16_e32 v6, 0xb846, v16
	v_fmac_f16_e32 v15, 0xb574, v8
	v_add_f16_e32 v7, v7, v12
	v_fmac_f16_e32 v2, 0x370e, v1
	v_fmac_f16_e32 v13, 0x370e, v1
	v_fma_f16 v3, v3, 0x3b00, -v6
	v_fmamk_f16 v6, v8, 0x3574, v6
	v_add_f16_e32 v8, v10, v17
	v_add_f16_e32 v10, v11, v12
	v_fmac_f16_e32 v15, 0x370e, v0
	v_fmac_f16_e32 v3, 0x370e, v0
	;; [unrolled: 1-line block ×3, first 2 shown]
	v_lshrrev_b32_e32 v0, 16, v65
	v_add_f16_e32 v79, v2, v10
	v_sub_f16_e32 v62, v10, v2
	v_sub_f16_e32 v1, v9, v3
	v_add_f16_e32 v61, v3, v9
	v_lshrrev_b32_e32 v3, 16, v107
	v_add_f16_e32 v86, v15, v5
	v_sub_f16_e32 v78, v5, v15
	v_lshrrev_b32_e32 v5, 16, v244
	v_add_f16_e32 v111, v6, v8
	v_mul_f16_e32 v2, v65, v3
	v_sub_f16_e32 v82, v8, v6
	v_sub_f16_e32 v112, v4, v13
	v_add_f16_e32 v85, v13, v4
	v_lshrrev_b32_e32 v4, 16, v63
	v_fmac_f16_e32 v2, v0, v107
	v_mul_f16_e32 v0, v0, v3
	v_mul_f16_e32 v3, v63, v5
	v_lshrrev_b32_e32 v6, 16, v109
	v_sub_f16_e32 v87, v7, v14
	v_add_f16_e32 v81, v14, v7
	v_fma_f16 v11, v65, v107, -v0
	v_fmac_f16_e64 v3, v4, v244
	v_mul_f16_e32 v4, v4, v5
	v_lshrrev_b32_e32 v5, 16, v67
	v_mul_f16_e32 v8, v67, v6
	v_or_b32_e32 v60, v18, v19
	v_pack_b32_f16 v1, v1, v79
	v_fma_f16 v10, v63, v244, -v4
	v_lshrrev_b32_e32 v63, 16, v113
	v_fmac_f16_e32 v8, v5, v109
	v_mul_f16_e32 v5, v5, v6
	v_add_f16_e32 v6, v70, v3
	v_add_f16_e32 v75, v69, v10
	v_pack_b32_f16 v16, v78, v81
	v_add_f16_e32 v7, v8, v72
	v_fma_f16 v9, v67, v109, -v5
	v_add_f16_e32 v67, v11, v73
	v_add_f16_e32 v5, v2, v74
	v_pack_b32_f16 v17, v82, v85
	v_lshrrev_b32_e32 v19, 16, v64
	v_add_f16_e32 v0, v9, v71
	v_add_f16_e32 v4, v75, v67
	;; [unrolled: 1-line block ×3, first 2 shown]
	v_sub_f16_e32 v10, v69, v10
	v_sub_f16_e32 v3, v70, v3
	;; [unrolled: 1-line block ×3, first 2 shown]
	v_add_f16_e32 v80, v0, v4
	v_add_f16_e32 v12, v7, v12
	v_pack_b32_f16 v4, v111, v112
	v_sub_f16_e32 v8, v72, v8
	v_sub_f16_e32 v2, v2, v74
	v_add_f16_e32 v65, v80, v113
	v_add_f16_e32 v13, v12, v63
	ds_store_b32 v152, v4 offset:1372
	v_pack_b32_f16 v4, v86, v87
	v_sub_f16_e32 v88, v8, v3
	v_and_b32_e32 v15, 0xffff, v65
	v_lshlrev_b32_e32 v14, 16, v13
	v_fmac_f16_e32 v13, 0xbcab, v12
	v_fmac_f16_e32 v65, 0xbcab, v80
	v_sub_f16_e32 v80, v5, v7
	v_sub_f16_e32 v7, v7, v6
	v_or_b32_e32 v14, v14, v15
	v_pack_b32_f16 v15, v61, v62
	ds_store_b32 v152, v4 offset:2744
	ds_store_b32 v152, v1 offset:4116
	;; [unrolled: 1-line block ×5, first 2 shown]
	ds_load_b32 v1, v152 offset:9408
	ds_load_2addr_b32 v[81:82], v152 offset0:98 offset1:147
	ds_load_2addr_b32 v[85:86], v195 offset0:16 offset1:65
	;; [unrolled: 1-line block ×14, first 2 shown]
	ds_store_2addr_b32 v152, v60, v14 offset1:49
	s_clause 0x1
	global_load_b64 v[111:112], v[76:77], off offset:2536
	global_load_b128 v[60:63], v[76:77], off offset:2520
	v_lshrrev_b32_e32 v16, 16, v68
	v_lshrrev_b32_e32 v4, 16, v66
	v_add_f16_e32 v87, v8, v3
	v_sub_f16_e32 v8, v2, v8
	v_mul_f16_e32 v80, 0x3a52, v80
	v_mul_f16_e32 v88, 0xb846, v88
	v_sub_f16_e32 v5, v6, v5
	v_add_f16_e32 v87, v87, v2
	v_sub_f16_e32 v2, v3, v2
	s_wait_loadcnt 0x1
	v_lshrrev_b32_e32 v20, 16, v111
	s_wait_loadcnt 0x0
	v_lshrrev_b32_e32 v18, 16, v62
	v_lshrrev_b32_e32 v15, 16, v60
	s_delay_alu instid0(VALU_DEP_2) | instskip(SKIP_1) | instid1(VALU_DEP_3)
	v_mul_f16_e32 v17, v16, v18
	v_mul_f16_e32 v18, v68, v18
	;; [unrolled: 1-line block ×4, first 2 shown]
	s_delay_alu instid0(VALU_DEP_4) | instskip(NEXT) | instid1(VALU_DEP_4)
	v_fma_f16 v17, v68, v62, -v17
	v_fmac_f16_e32 v18, v16, v62
	v_lshrrev_b32_e32 v16, 16, v112
	s_delay_alu instid0(VALU_DEP_4)
	v_fmac_f16_e32 v15, v4, v60
	v_sub_f16_e32 v4, v11, v73
	s_wait_dscnt 0xb
	v_lshrrev_b32_e32 v11, 16, v116
	v_fma_f16 v14, v66, v60, -v14
	v_mul_f16_e32 v12, v116, v16
	v_mul_f16_e32 v66, v19, v20
	v_lshrrev_b32_e32 v73, 16, v81
	s_delay_alu instid0(VALU_DEP_3) | instskip(SKIP_1) | instid1(VALU_DEP_4)
	v_fmac_f16_e32 v12, v11, v112
	v_mul_f16_e32 v11, v11, v16
	v_fma_f16 v66, v64, v111, -v66
	v_mul_f16_e32 v64, v64, v20
	v_lshrrev_b32_e32 v20, 16, v61
	s_delay_alu instid0(VALU_DEP_4) | instskip(SKIP_1) | instid1(VALU_DEP_4)
	v_fma_f16 v11, v116, v112, -v11
	v_fmamk_f16 v116, v8, 0x3574, v88
	v_fmac_f16_e32 v64, v19, v111
	s_delay_alu instid0(VALU_DEP_4) | instskip(NEXT) | instid1(VALU_DEP_4)
	v_mul_f16_e32 v19, v85, v20
	v_add_f16_e32 v16, v14, v11
	v_sub_f16_e32 v11, v14, v11
	v_add_f16_e32 v14, v15, v12
	v_sub_f16_e32 v12, v15, v12
	v_lshrrev_b32_e32 v15, 16, v85
	v_fmac_f16_e32 v116, 0x370e, v87
	s_delay_alu instid0(VALU_DEP_2) | instskip(SKIP_2) | instid1(VALU_DEP_2)
	v_fmac_f16_e32 v19, v15, v61
	v_mul_f16_e32 v15, v15, v20
	v_lshrrev_b32_e32 v20, 16, v63
	v_fma_f16 v15, v85, v61, -v15
	s_delay_alu instid0(VALU_DEP_2) | instskip(SKIP_1) | instid1(VALU_DEP_3)
	v_mul_f16_e32 v69, v114, v20
	v_sub_f16_e32 v85, v9, v10
	v_add_f16_e32 v68, v15, v66
	v_sub_f16_e32 v15, v15, v66
	v_add_f16_e32 v66, v19, v64
	v_sub_f16_e32 v19, v19, v64
	v_lshrrev_b32_e32 v64, 16, v114
	v_mul_f16_e32 v85, 0xb846, v85
	v_sub_f16_e32 v6, v15, v11
	s_delay_alu instid0(VALU_DEP_3) | instskip(SKIP_2) | instid1(VALU_DEP_2)
	v_fmac_f16_e32 v69, v64, v63
	v_mul_f16_e32 v64, v64, v20
	v_mov_b32_e32 v20, v172
	v_fma_f16 v64, v114, v63, -v64
	v_fmamk_f16 v114, v7, 0x2b26, v80
	v_mul_f16_e32 v7, 0x2b26, v7
	s_delay_alu instid0(VALU_DEP_3)
	v_add_f16_e32 v70, v17, v64
	v_sub_f16_e32 v17, v64, v17
	v_add_f16_e32 v64, v18, v69
	v_sub_f16_e32 v18, v69, v18
	v_add_f16_e32 v69, v68, v16
	v_add_f16_e32 v114, v114, v13
	v_add_f16_e64 v143, v17, v15
	v_sub_f16_e64 v144, v17, v15
	v_sub_f16_e64 v142, v14, v64
	v_add_f16_e32 v69, v70, v69
	v_sub_f16_e32 v17, v11, v17
	v_add_f16_e64 v145, v18, v19
	v_add_f16_e64 v143, v143, v11
	v_mul_f16_e64 v144, 0xb846, v144
	v_add_f16_e32 v71, v69, v81
	v_add_f16_e32 v81, v9, v10
	v_sub_f16_e32 v9, v4, v9
	v_sub_f16_e32 v11, v66, v14
	v_sub_f16_e64 v146, v18, v19
	v_and_b32_e32 v72, 0xffff, v71
	v_fmac_f16_e32 v71, 0xbcab, v69
	v_add_f16_e32 v69, v66, v14
	v_add_f16_e32 v81, v81, v4
	v_fmamk_f16 v120, v9, 0x3574, v85
	v_sub_f16_e32 v4, v10, v4
	v_sub_f16_e32 v10, v75, v67
	v_add_f16_e32 v69, v64, v69
	v_mul_f16_e32 v14, 0xbb00, v6
	v_fmac_f16_e32 v120, 0x370e, v81
	v_mul_f16_e32 v3, 0xbb00, v4
	v_sub_f16_e32 v18, v12, v18
	v_add_f16_e32 v73, v69, v73
	v_add_f16_e64 v145, v145, v12
	v_sub_f16_e64 v141, v114, v120
	v_fmac_f16_e32 v3, 0xb574, v9
	v_mul_f16_e32 v9, 0xbb00, v2
	v_lshlrev_b32_e32 v74, 16, v73
	v_fmac_f16_e32 v73, 0xbcab, v69
	v_sub_f16_e32 v69, v67, v0
	v_sub_f16_e32 v0, v0, v75
	v_fma_f16 v150, 0x3574, v17, v144
	v_fmac_f16_e32 v9, 0xb574, v8
	v_sub_f16_e32 v8, v68, v16
	v_mul_f16_e32 v69, 0x3a52, v69
	v_sub_f16_e32 v12, v19, v12
	v_fmac_f16_e32 v14, 0xb574, v17
	v_fma_f16 v17, v5, 0xb9e0, -v80
	v_mul_f16_e64 v146, 0xb846, v146
	v_fmamk_f16 v113, v0, 0x2b26, v69
	v_mul_f16_e32 v15, 0xbb00, v12
	v_fmac_f16_e32 v9, 0x370e, v87
	v_add_f16_e32 v17, v17, v13
	v_fmac_f16_e32 v3, 0x370e, v81
	v_add_f16_e32 v113, v113, v65
	v_sub_f16_e32 v64, v64, v66
	v_fma_f16 v149, 0x3574, v18, v146
	v_fmac_f16_e32 v15, 0xb574, v18
	v_sub_f16_e32 v19, v17, v3
	v_add_f16_e64 v140, v116, v113
	v_fma_f16 v5, v5, 0x39e0, -v7
	v_mul_f16_e32 v0, 0x2b26, v0
	v_fma_f16 v4, v4, 0x3b00, -v85
	v_fma_f16 v2, v2, 0x3b00, -v88
	v_pack_b32_f16 v140, v140, v141
	v_sub_f16_e64 v141, v16, v70
	v_fma_f16 v16, v10, 0xb9e0, -v69
	v_sub_f16_e32 v70, v70, v68
	v_fma_f16 v0, v10, 0x39e0, -v0
	v_fma_f16 v6, v6, 0x3b00, -v144
	v_mul_f16_e64 v141, 0x3a52, v141
	v_add_f16_e32 v16, v16, v65
	v_mul_f16_e32 v7, 0x2b26, v70
	v_fma_f16 v10, v12, 0x3b00, -v146
	v_mul_f16_e64 v142, 0x3a52, v142
	v_add_f16_e32 v0, v0, v65
	v_add_f16_e32 v18, v9, v16
	v_fma_f16 v7, v8, 0x39e0, -v7
	v_add_f16_e32 v5, v5, v13
	v_fmac_f16_e32 v4, 0x370e, v81
	v_fmac_f16_e32 v2, 0x370e, v87
	v_pack_b32_f16 v18, v18, v19
	v_fma_f16 v19, v8, 0xb9e0, -v141
	v_mul_f16_e32 v8, 0x2b26, v64
	v_add_f16_e32 v7, v7, v71
	v_fmac_f16_e64 v6, 0x370e, v143
	v_fmac_f16_e64 v10, 0x370e, v145
	v_fma_f16 v66, v11, 0xb9e0, -v142
	v_fma_f16 v8, v11, 0x39e0, -v8
	v_sub_f16_e32 v11, v0, v2
	v_add_f16_e32 v12, v4, v5
	v_add_f16_e32 v0, v2, v0
	v_sub_f16_e32 v2, v5, v4
	v_add_f16_e32 v8, v8, v73
	v_add_f16_e32 v4, v10, v7
	v_fma_f16 v147, 0x2b26, v70, v141
	v_fma_f16 v148, 0x2b26, v64, v142
	v_add_f16_e32 v19, v19, v71
	v_sub_f16_e32 v5, v8, v6
	v_add_f16_e32 v66, v66, v73
	v_fmac_f16_e64 v15, 0x370e, v145
	v_fmac_f16_e64 v14, 0x370e, v143
	v_pack_b32_f16 v0, v0, v2
	v_pack_b32_f16 v2, v4, v5
	v_add_f16_e64 v147, v147, v71
	v_add_f16_e64 v148, v148, v73
	v_fmac_f16_e64 v149, 0x370e, v145
	v_fmac_f16_e64 v150, 0x370e, v143
	ds_store_2addr_b32 v223, v0, v2 offset0:141 offset1:190
	v_sub_f16_e32 v0, v16, v9
	v_add_f16_e32 v2, v3, v17
	v_sub_f16_e32 v3, v19, v15
	v_add_f16_e32 v4, v14, v66
	v_add_f16_e64 v151, v149, v147
	v_sub_f16_e64 v155, v148, v150
	v_pack_b32_f16 v0, v0, v2
	v_add_f16_e32 v67, v15, v19
	v_pack_b32_f16 v2, v3, v4
	v_sub_f16_e32 v68, v66, v14
	v_pack_b32_f16 v151, v151, v155
	v_pack_b32_f16 v11, v11, v12
	v_sub_f16_e32 v12, v7, v10
	v_add_f16_e32 v13, v6, v8
	v_sub_f16_e64 v3, v147, v149
	v_add_f16_e64 v4, v150, v148
	v_mov_b32_e32 v155, v93
	ds_store_2addr_b32 v246, v0, v2 offset0:100 offset1:149
	v_sub_f16_e32 v0, v113, v116
	v_add_f16_e32 v2, v120, v114
	v_pack_b32_f16 v67, v67, v68
	v_pack_b32_f16 v12, v12, v13
	ds_store_2addr_b32 v252, v140, v151 offset0:136 offset1:185
	v_lshrrev_b32_e32 v7, 16, v117
	v_pack_b32_f16 v0, v0, v2
	v_pack_b32_f16 v2, v3, v4
	ds_store_2addr_b32 v170, v18, v67 offset0:95 offset1:144
	ds_store_2addr_b32 v208, v11, v12 offset0:54 offset1:103
	v_lshrrev_b32_e32 v4, 16, v115
	s_wait_dscnt 0xd
	v_lshrrev_b32_e32 v10, 16, v138
	ds_store_2addr_b32 v187, v0, v2 offset0:59 offset1:108
	s_clause 0x1
	global_load_b64 v[113:114], v[76:77], off offset:3712
	global_load_b128 v[64:67], v[76:77], off offset:3696
	v_lshrrev_b32_e32 v0, 16, v86
	v_lshrrev_b32_e32 v18, 16, v82
	;; [unrolled: 1-line block ×3, first 2 shown]
	s_wait_loadcnt 0x1
	v_lshrrev_b32_e32 v9, 16, v114
	s_wait_loadcnt 0x0
	v_lshrrev_b32_e32 v226, 16, v67
	v_lshrrev_b32_e32 v211, 16, v64
	;; [unrolled: 1-line block ×4, first 2 shown]
	v_mul_f16_e32 v8, v7, v9
	v_mul_f16_e64 v6, v115, v226
	v_mul_f16_e32 v9, v117, v9
	v_mul_f16_e64 v5, v4, v226
	v_mul_f16_e64 v11, v138, v12
	v_lshrrev_b32_e32 v207, 16, v66
	v_fmac_f16_e32 v6, v4, v67
	v_fmac_f16_e32 v9, v7, v114
	v_lshrrev_b32_e32 v4, 16, v134
	v_mul_f16_e64 v7, v134, v211
	v_mul_f16_e64 v2, v0, v224
	;; [unrolled: 1-line block ×3, first 2 shown]
	v_fmac_f16_e32 v11, v10, v113
	v_mul_f16_e32 v10, v10, v12
	v_fmac_f16_e32 v7, v4, v64
	v_mul_f16_e64 v4, v4, v211
	v_lshrrev_b32_e32 v12, 16, v136
	v_mul_f16_e64 v13, v136, v207
	v_fma_f16 v2, v86, v65, -v2
	v_fma_f16 v8, v117, v114, -v8
	v_fmac_f16_e32 v3, v0, v65
	v_fma_f16 v4, v134, v64, -v4
	v_fmac_f16_e32 v13, v12, v66
	v_mul_f16_e64 v12, v12, v207
	v_fma_f16 v10, v138, v113, -v10
	v_fma_f16 v5, v115, v67, -v5
	v_or_b32_e32 v0, v74, v72
	v_add_f16_e32 v14, v4, v8
	v_fma_f16 v12, v136, v66, -v12
	v_add_f16_e32 v15, v2, v10
	v_add_f16_e32 v72, v7, v9
	;; [unrolled: 1-line block ×6, first 2 shown]
	v_sub_f16_e32 v3, v3, v11
	v_add_f16_e32 v68, v73, v72
	v_sub_f16_e32 v5, v5, v12
	s_wait_dscnt 0xc
	v_lshrrev_b32_e32 v11, 16, v132
	v_add_f16_e32 v17, v16, v17
	v_sub_f16_e32 v6, v6, v13
	v_add_f16_e32 v75, v74, v68
	v_sub_f16_e32 v2, v2, v10
	s_delay_alu instid0(VALU_DEP_4) | instskip(SKIP_1) | instid1(VALU_DEP_4)
	v_add_f16_e32 v19, v17, v82
	v_lshrrev_b32_e32 v82, 16, v137
	v_add_f16_e32 v18, v75, v18
	s_delay_alu instid0(VALU_DEP_4) | instskip(NEXT) | instid1(VALU_DEP_4)
	v_sub_f16_e32 v120, v5, v2
	v_and_b32_e32 v69, 0xffff, v19
	v_fmac_f16_e32 v19, 0xbcab, v17
	s_delay_alu instid0(VALU_DEP_4)
	v_lshlrev_b32_e32 v68, 16, v18
	v_fmac_f16_e32 v18, 0xbcab, v75
	s_wait_dscnt 0xb
	v_lshrrev_b32_e32 v75, 16, v130
	v_mul_f16_e32 v120, 0xb846, v120
	v_or_b32_e32 v68, v68, v69
	ds_store_2addr_b32 v152, v0, v68 offset0:98 offset1:147
	s_clause 0x1
	global_load_b64 v[115:116], v[76:77], off offset:4888
	global_load_b128 v[68:71], v[76:77], off offset:4872
	v_lshrrev_b32_e32 v0, 16, v135
	s_wait_loadcnt 0x1
	v_lshrrev_b32_e32 v21, 16, v115
	s_wait_loadcnt 0x0
	v_lshrrev_b32_e32 v203, 16, v68
	v_lshrrev_b32_e32 v202, 16, v69
	v_lshrrev_b32_e32 v200, 16, v71
	v_lshrrev_b32_e32 v204, 16, v70
	v_mul_f16_e32 v88, v87, v21
	v_mul_f16_e64 v81, v135, v203
	v_mul_f16_e64 v80, v0, v203
	;; [unrolled: 1-line block ×4, first 2 shown]
	v_fma_f16 v88, v139, v115, -v88
	v_fmac_f16_e32 v81, v0, v68
	v_sub_f16_e32 v0, v4, v8
	v_sub_f16_e32 v4, v7, v9
	v_lshrrev_b32_e32 v9, 16, v116
	s_wait_dscnt 0xb
	v_lshrrev_b32_e32 v7, 16, v118
	v_fma_f16 v80, v135, v68, -v80
	v_fmac_f16_e32 v12, v11, v69
	v_mul_f16_e64 v11, v11, v202
	v_mul_f16_e32 v8, v118, v9
	v_fma_f16 v85, v137, v70, -v85
	v_mul_f16_e64 v86, v137, v204
	v_mul_f16_e64 v117, v139, v21
	v_fma_f16 v11, v132, v69, -v11
	v_fmac_f16_e32 v8, v7, v116
	v_mul_f16_e32 v7, v7, v9
	v_fmac_f16_e32 v86, v82, v70
	v_fmac_f16_e32 v117, v87, v115
	v_add_f16_e32 v13, v11, v88
	v_add_f16_e32 v10, v81, v8
	v_fma_f16 v7, v118, v116, -v7
	v_sub_f16_e32 v8, v81, v8
	v_add_f16_e32 v17, v12, v117
	v_sub_f16_e32 v11, v11, v88
	v_sub_f16_e32 v12, v12, v117
	v_add_f16_e32 v9, v80, v7
	v_sub_f16_e32 v7, v80, v7
	v_mul_f16_e64 v80, v130, v200
	v_sub_f16_e32 v117, v72, v74
	v_sub_f16_e64 v132, v6, v3
	v_sub_f16_e32 v74, v74, v73
	v_add_f16_e32 v118, v5, v2
	v_fmac_f16_e32 v80, v75, v71
	v_mul_f16_e64 v75, v75, v200
	v_sub_f16_e32 v5, v0, v5
	v_mul_f16_e32 v117, 0x3a52, v117
	v_mul_f16_e64 v132, 0xb846, v132
	v_add_f16_e32 v82, v86, v80
	v_fma_f16 v75, v130, v71, -v75
	v_sub_f16_e32 v80, v80, v86
	v_add_f16_e64 v130, v6, v3
	v_sub_f16_e32 v6, v4, v6
	v_add_f16_e32 v118, v118, v0
	v_add_f16_e32 v81, v85, v75
	v_sub_f16_e32 v75, v75, v85
	v_add_f16_e32 v85, v13, v9
	v_add_f16_e64 v130, v130, v4
	v_fma_f16 v135, 0x2b26, v74, v117
	v_fma_f16 v136, 0x3574, v6, v132
	;; [unrolled: 1-line block ×3, first 2 shown]
	v_add_f16_e32 v85, v81, v85
	v_sub_f16_e32 v0, v2, v0
	v_add_f16_e64 v135, v135, v18
	v_fmac_f16_e64 v136, 0x370e, v130
	v_fmac_f16_e64 v137, 0x370e, v118
	v_add_f16_e32 v86, v85, v78
	v_lshrrev_b32_e32 v78, 16, v78
	v_add_f16_e64 v141, v75, v11
	v_sub_f16_e32 v3, v3, v4
	v_mul_f16_e32 v4, 0xbb00, v0
	v_and_b32_e32 v87, 0xffff, v86
	v_fmac_f16_e32 v86, 0xbcab, v85
	v_add_f16_e32 v85, v17, v10
	v_sub_f16_e64 v139, v135, v137
	v_sub_f16_e64 v142, v75, v11
	v_sub_f16_e32 v75, v7, v75
	v_add_f16_e64 v143, v80, v12
	v_add_f16_e32 v85, v82, v85
	v_add_f16_e64 v141, v141, v7
	v_sub_f16_e32 v2, v15, v14
	v_fmac_f16_e32 v4, 0xb574, v5
	v_sub_f16_e32 v5, v11, v7
	v_add_f16_e32 v78, v85, v78
	v_mul_f16_e32 v7, 0xbb00, v3
	v_sub_f16_e64 v144, v80, v12
	v_sub_f16_e32 v80, v8, v80
	v_add_f16_e64 v143, v143, v8
	v_lshlrev_b32_e32 v88, 16, v78
	v_fmac_f16_e32 v78, 0xbcab, v85
	v_sub_f16_e32 v85, v14, v16
	v_sub_f16_e32 v16, v16, v15
	;; [unrolled: 1-line block ×3, first 2 shown]
	v_fmac_f16_e32 v7, 0xb574, v6
	v_sub_f16_e32 v6, v13, v9
	v_mul_f16_e32 v85, 0x3a52, v85
	v_sub_f16_e32 v8, v12, v8
	v_sub_f16_e64 v140, v10, v82
	v_fmac_f16_e64 v7, 0x370e, v130
	v_fmac_f16_e32 v4, 0x370e, v118
	v_fma_f16 v134, 0x2b26, v16, v85
	v_fma_f16 v12, v2, 0xb9e0, -v85
	v_sub_f16_e32 v82, v82, v17
	v_mul_f16_e64 v140, 0x3a52, v140
	v_mul_f16_e32 v11, 0xbb00, v8
	v_add_f16_e64 v134, v134, v19
	v_add_f16_e32 v12, v12, v19
	v_mul_f16_e64 v142, 0xb846, v142
	v_mul_f16_e64 v144, 0xb846, v144
	v_fmac_f16_e32 v11, 0xb574, v80
	v_add_f16_e64 v138, v136, v134
	v_add_f16_e32 v15, v7, v12
	v_fma_f16 v148, 0x3574, v75, v142
	v_fma_f16 v0, v0, 0x3b00, -v120
	v_fmac_f16_e64 v11, 0x370e, v143
	v_pack_b32_f16 v138, v138, v139
	v_sub_f16_e64 v139, v9, v81
	v_sub_f16_e32 v81, v81, v13
	v_fma_f16 v13, v14, 0xb9e0, -v117
	v_sub_f16_e32 v9, v17, v10
	v_mul_f16_e32 v10, 0xbb00, v5
	v_mul_f16_e64 v139, 0x3a52, v139
	v_fma_f16 v3, v3, 0x3b00, -v132
	v_add_f16_e32 v13, v13, v18
	v_fma_f16 v72, v9, 0xb9e0, -v140
	v_fmac_f16_e32 v10, 0xb574, v75
	v_fma_f16 v5, v5, 0x3b00, -v142
	v_fma_f16 v8, v8, 0x3b00, -v144
	v_sub_f16_e32 v17, v13, v4
	v_add_f16_e32 v72, v72, v78
	v_fmac_f16_e64 v10, 0x370e, v141
	v_fmac_f16_e32 v0, 0x370e, v118
	v_fmac_f16_e64 v3, 0x370e, v130
	v_pack_b32_f16 v15, v15, v17
	v_fma_f16 v17, v6, 0xb9e0, -v139
	v_sub_f16_e32 v75, v72, v10
	v_fmac_f16_e64 v5, 0x370e, v141
	v_fmac_f16_e64 v8, 0x370e, v143
	v_fma_f16 v145, 0x2b26, v81, v139
	v_add_f16_e32 v17, v17, v86
	v_fma_f16 v146, 0x2b26, v82, v140
	v_fma_f16 v147, 0x3574, v80, v144
	v_fmac_f16_e64 v148, 0x370e, v141
	v_add_f16_e64 v145, v145, v86
	v_add_f16_e32 v73, v11, v17
	v_add_f16_e64 v146, v146, v78
	v_fmac_f16_e64 v147, 0x370e, v143
	s_delay_alu instid0(VALU_DEP_3) | instskip(NEXT) | instid1(VALU_DEP_3)
	v_pack_b32_f16 v73, v73, v75
	v_sub_f16_e64 v150, v146, v148
	s_delay_alu instid0(VALU_DEP_3) | instskip(SKIP_3) | instid1(VALU_DEP_2)
	v_add_f16_e64 v149, v147, v145
	ds_store_2addr_b32 v195, v15, v73 offset0:65 offset1:114
	v_mul_f16_e32 v15, 0x2b26, v16
	v_pack_b32_f16 v149, v149, v150
	v_fma_f16 v2, v2, 0x39e0, -v15
	v_mul_f16_e32 v15, 0x2b26, v74
	ds_store_2addr_b32 v217, v138, v149 offset0:106 offset1:155
	v_add_f16_e32 v2, v2, v19
	v_fma_f16 v14, v14, 0x39e0, -v15
	v_mul_f16_e32 v15, 0x2b26, v81
	s_delay_alu instid0(VALU_DEP_2) | instskip(NEXT) | instid1(VALU_DEP_2)
	v_add_f16_e32 v14, v14, v18
	v_fma_f16 v6, v6, 0x39e0, -v15
	v_mul_f16_e32 v15, 0x2b26, v82
	s_delay_alu instid0(VALU_DEP_3) | instskip(NEXT) | instid1(VALU_DEP_3)
	v_add_f16_e32 v16, v0, v14
	v_add_f16_e32 v6, v6, v86
	s_delay_alu instid0(VALU_DEP_3)
	v_fma_f16 v9, v9, 0x39e0, -v15
	v_sub_f16_e32 v15, v2, v3
	v_add_f16_e32 v2, v3, v2
	v_sub_f16_e32 v0, v14, v0
	v_add_f16_e32 v3, v8, v6
	v_add_f16_e32 v9, v9, v78
	v_pack_b32_f16 v15, v15, v16
	v_sub_f16_e32 v16, v6, v8
	v_pack_b32_f16 v0, v2, v0
	s_delay_alu instid0(VALU_DEP_4) | instskip(SKIP_1) | instid1(VALU_DEP_2)
	v_add_f16_e32 v18, v5, v9
	v_sub_f16_e32 v5, v9, v5
	v_pack_b32_f16 v16, v16, v18
	s_delay_alu instid0(VALU_DEP_2)
	v_pack_b32_f16 v2, v3, v5
	v_sub_f16_e32 v3, v17, v11
	v_lshrrev_b32_e32 v18, 16, v79
	ds_store_2addr_b32 v208, v15, v16 offset0:152 offset1:201
	ds_store_2addr_b32 v172, v0, v2 offset0:111 offset1:160
	v_sub_f16_e32 v0, v12, v7
	v_add_f16_e32 v2, v4, v13
	v_add_f16_e32 v4, v10, v72
	v_lshrrev_b32_e32 v7, 16, v119
	s_wait_dscnt 0xc
	v_lshrrev_b32_e32 v10, 16, v124
	v_lshrrev_b32_e32 v12, 16, v126
	v_pack_b32_f16 v0, v0, v2
	v_pack_b32_f16 v2, v3, v4
	v_sub_f16_e64 v3, v145, v147
	v_add_f16_e64 v4, v148, v146
	ds_store_2addr_b32 v169, v0, v2 offset0:70 offset1:119
	v_sub_f16_e64 v0, v134, v136
	v_add_f16_e64 v2, v137, v135
	s_delay_alu instid0(VALU_DEP_1)
	v_pack_b32_f16 v0, v0, v2
	v_pack_b32_f16 v2, v3, v4
	v_lshrrev_b32_e32 v4, 16, v131
	ds_store_2addr_b32 v187, v0, v2 offset0:157 offset1:206
	s_clause 0x1
	global_load_b64 v[117:118], v[76:77], off offset:6064
	global_load_b128 v[72:75], v[76:77], off offset:6048
	v_lshrrev_b32_e32 v0, 16, v133
	s_wait_loadcnt 0x1
	v_lshrrev_b32_e32 v199, 16, v118
	s_wait_loadcnt 0x0
	v_lshrrev_b32_e32 v175, 16, v75
	v_lshrrev_b32_e32 v241, 16, v72
	;; [unrolled: 1-line block ×4, first 2 shown]
	v_mul_f16_e64 v9, v119, v199
	v_mul_f16_e64 v6, v131, v175
	;; [unrolled: 1-line block ×5, first 2 shown]
	v_fmac_f16_e32 v9, v7, v118
	v_fmac_f16_e32 v6, v4, v75
	v_lshrrev_b32_e32 v4, 16, v128
	v_mul_f16_e64 v7, v128, v241
	v_lshrrev_b32_e32 v14, 16, v74
	v_mul_f16_e64 v2, v0, v173
	v_mul_f16_e64 v3, v133, v173
	v_fmac_f16_e32 v11, v10, v117
	v_fmac_f16_e32 v7, v4, v72
	v_mul_f16_e64 v4, v4, v241
	v_mul_f16_e64 v10, v10, v191
	v_mul_f16_e32 v13, v126, v14
	v_fma_f16 v2, v133, v73, -v2
	v_fma_f16 v8, v119, v118, -v8
	v_fmac_f16_e32 v3, v0, v73
	v_fma_f16 v4, v128, v72, -v4
	v_fmac_f16_e32 v13, v12, v74
	v_mul_f16_e32 v12, v12, v14
	v_fma_f16 v10, v124, v117, -v10
	v_fma_f16 v5, v131, v75, -v5
	v_add_f16_e32 v14, v4, v8
	v_add_f16_e32 v80, v7, v9
	v_fma_f16 v12, v126, v74, -v12
	v_add_f16_e32 v15, v2, v10
	v_add_f16_e32 v81, v3, v11
	;; [unrolled: 1-line block ×3, first 2 shown]
	v_or_b32_e32 v0, v88, v87
	v_add_f16_e32 v16, v12, v5
	v_add_f16_e32 v17, v15, v14
	;; [unrolled: 1-line block ×3, first 2 shown]
	v_lshrrev_b32_e32 v88, 16, v123
	v_lshrrev_b32_e32 v131, 16, v125
	;; [unrolled: 1-line block ×3, first 2 shown]
	v_add_f16_e32 v17, v16, v17
	v_add_f16_e32 v85, v82, v78
	v_sub_f16_e32 v2, v2, v10
	v_sub_f16_e32 v5, v5, v12
	;; [unrolled: 1-line block ×3, first 2 shown]
	v_add_f16_e32 v19, v17, v79
	v_add_f16_e32 v18, v85, v18
	v_sub_f16_e32 v3, v3, v11
	s_delay_alu instid0(VALU_DEP_3) | instskip(NEXT) | instid1(VALU_DEP_3)
	v_and_b32_e32 v79, 0xffff, v19
	v_lshlrev_b32_e32 v78, 16, v18
	v_fmac_f16_e32 v19, 0xbcab, v17
	v_fmac_f16_e32 v18, 0xbcab, v85
	s_delay_alu instid0(VALU_DEP_3)
	v_or_b32_e32 v78, v78, v79
	ds_store_2addr_b32 v152, v0, v78 offset0:196 offset1:245
	s_clause 0x1
	global_load_b64 v[119:120], v[76:77], off offset:7240
	global_load_b128 v[76:79], v[76:77], off offset:7224
	v_lshrrev_b32_e32 v0, 16, v129
	s_wait_loadcnt 0x1
	v_lshrrev_b32_e32 v178, 16, v119
	s_wait_loadcnt 0x0
	v_lshrrev_b32_e32 v205, 16, v76
	v_lshrrev_b32_e32 v172, 16, v77
	;; [unrolled: 1-line block ×5, first 2 shown]
	v_mul_f16_e64 v87, v129, v205
	v_mul_f16_e64 v124, v88, v172
	;; [unrolled: 1-line block ×5, first 2 shown]
	v_fmac_f16_e32 v87, v0, v76
	v_fma_f16 v124, v123, v77, -v124
	v_mul_f16_e64 v123, v123, v172
	v_lshrrev_b32_e32 v0, 16, v1
	v_fma_f16 v86, v129, v76, -v86
	v_lshrrev_b32_e32 v129, 16, v122
	v_fma_f16 v132, v125, v119, -v132
	v_fmac_f16_e32 v123, v88, v77
	v_mul_f16_e64 v88, v0, v179
	v_fma_f16 v128, v127, v78, -v128
	v_mul_f16_e64 v130, v129, v22
	v_add_f16_e64 v10, v124, v132
	v_mul_f16_e64 v127, v127, v239
	v_fma_f16 v88, v1, v120, -v88
	v_mul_f16_e64 v1, v1, v179
	v_fma_f16 v130, v122, v79, -v130
	v_mul_f16_e32 v122, v122, v22
	v_mul_f16_e64 v125, v125, v178
	v_fmac_f16_e32 v127, v126, v78
	v_fmac_f16_e32 v1, v0, v120
	v_sub_f16_e32 v0, v4, v8
	v_sub_f16_e32 v4, v7, v9
	v_add_f16_e32 v7, v86, v88
	v_sub_f16_e32 v8, v86, v88
	v_add_f16_e64 v17, v128, v130
	v_fmac_f16_e64 v122, v129, v79
	v_fmac_f16_e64 v125, v131, v119
	v_add_f16_e32 v88, v10, v7
	v_add_f16_e32 v9, v87, v1
	v_sub_f16_e32 v1, v87, v1
	v_add_f16_e32 v86, v127, v122
	v_add_f16_e32 v12, v123, v125
	;; [unrolled: 1-line block ×3, first 2 shown]
	v_sub_f16_e32 v87, v122, v127
	v_sub_f16_e32 v13, v123, v125
	v_sub_f16_e64 v11, v124, v132
	v_sub_f16_e32 v125, v80, v82
	v_add_f16_e32 v122, v88, v121
	v_lshrrev_b32_e32 v121, 16, v121
	v_sub_f16_e32 v127, v5, v2
	v_sub_f16_e64 v129, v6, v3
	v_sub_f16_e64 v85, v130, v128
	v_and_b32_e32 v123, 0xffff, v122
	v_fmac_f16_e32 v122, 0xbcab, v88
	v_add_f16_e32 v88, v12, v9
	v_sub_f16_e32 v82, v82, v81
	v_add_f16_e32 v126, v5, v2
	v_sub_f16_e32 v5, v0, v5
	v_add_f16_e64 v128, v6, v3
	v_add_f16_e32 v88, v86, v88
	v_sub_f16_e32 v6, v4, v6
	v_mul_f16_e32 v125, 0x3a52, v125
	v_mul_f16_e32 v127, 0xb846, v127
	v_mul_f16_e64 v129, 0xb846, v129
	v_add_f16_e32 v121, v88, v121
	v_add_f16_e32 v126, v126, v0
	v_add_f16_e64 v128, v128, v4
	v_fma_f16 v131, 0x2b26, v82, v125
	v_fma_f16 v132, 0x3574, v6, v129
	v_lshlrev_b32_e32 v124, 16, v121
	v_fmac_f16_e32 v121, 0xbcab, v88
	v_sub_f16_e32 v88, v14, v16
	v_sub_f16_e32 v16, v16, v15
	v_fma_f16 v133, 0x3574, v5, v127
	v_sub_f16_e32 v0, v2, v0
	v_add_f16_e64 v131, v131, v18
	v_mul_f16_e32 v88, 0x3a52, v88
	v_fmac_f16_e64 v132, 0x370e, v128
	v_fmac_f16_e64 v133, 0x370e, v126
	v_add_f16_e64 v137, v85, v11
	v_sub_f16_e32 v3, v3, v4
	v_fma_f16 v130, 0x2b26, v16, v88
	v_mul_f16_e32 v4, 0xbb00, v0
	v_sub_f16_e64 v135, v131, v133
	v_sub_f16_e64 v138, v85, v11
	v_sub_f16_e32 v85, v8, v85
	v_add_f16_e64 v130, v130, v19
	v_add_f16_e64 v137, v137, v8
	v_sub_f16_e32 v2, v15, v14
	v_sub_f16_e32 v14, v81, v80
	v_fmac_f16_e32 v4, 0xb574, v5
	v_add_f16_e64 v134, v132, v130
	v_sub_f16_e32 v5, v11, v8
	v_mul_f16_e32 v8, 0xbb00, v3
	v_sub_f16_e64 v136, v9, v86
	v_sub_f16_e32 v86, v86, v12
	v_pack_b32_f16 v134, v134, v135
	v_sub_f16_e64 v135, v7, v17
	v_add_f16_e64 v139, v87, v13
	v_fmac_f16_e32 v8, 0xb574, v6
	v_sub_f16_e32 v6, v10, v7
	v_sub_f16_e32 v7, v12, v9
	v_fma_f16 v11, v2, 0xb9e0, -v88
	v_fma_f16 v12, v14, 0xb9e0, -v125
	v_sub_f16_e64 v140, v87, v13
	v_sub_f16_e32 v87, v1, v87
	v_add_f16_e64 v139, v139, v1
	v_sub_f16_e32 v1, v13, v1
	v_add_f16_e32 v11, v11, v19
	v_add_f16_e32 v12, v12, v18
	v_fmac_f16_e64 v8, 0x370e, v128
	v_fmac_f16_e32 v4, 0x370e, v126
	v_sub_f16_e32 v17, v17, v10
	v_mul_f16_e64 v135, 0x3a52, v135
	v_mul_f16_e64 v136, 0x3a52, v136
	v_mul_f16_e32 v9, 0xbb00, v5
	v_mul_f16_e32 v10, 0xbb00, v1
	v_add_f16_e32 v13, v8, v11
	v_sub_f16_e32 v15, v12, v4
	v_fma_f16 v80, v7, 0xb9e0, -v136
	v_fmac_f16_e32 v9, 0xb574, v85
	v_fmac_f16_e32 v10, 0xb574, v87
	v_mul_f16_e64 v138, 0xb846, v138
	v_pack_b32_f16 v13, v13, v15
	v_fma_f16 v15, v6, 0xb9e0, -v135
	v_add_f16_e32 v80, v80, v121
	v_fmac_f16_e64 v10, 0x370e, v139
	v_fmac_f16_e64 v9, 0x370e, v137
	v_fma_f16 v144, 0x3574, v85, v138
	v_add_f16_e32 v15, v15, v122
	v_mul_f16_e64 v140, 0xb846, v140
	v_fma_f16 v0, v0, 0x3b00, -v127
	v_sub_f16_e32 v85, v80, v9
	v_fma_f16 v3, v3, 0x3b00, -v129
	v_add_f16_e32 v81, v10, v15
	v_fma_f16 v5, v5, 0x3b00, -v138
	v_fmac_f16_e32 v0, 0x370e, v126
	v_fma_f16 v1, v1, 0x3b00, -v140
	v_fmac_f16_e64 v3, 0x370e, v128
	v_pack_b32_f16 v81, v81, v85
	v_fmac_f16_e64 v5, 0x370e, v137
	v_fma_f16 v141, 0x2b26, v17, v135
	v_fmac_f16_e64 v1, 0x370e, v139
	v_fma_f16 v142, 0x2b26, v86, v136
	ds_store_2addr_b32 v195, v13, v81 offset0:163 offset1:212
	v_mul_f16_e32 v13, 0x2b26, v16
	v_fma_f16 v143, 0x3574, v87, v140
	v_add_f16_e64 v141, v141, v122
	v_add_f16_e64 v142, v142, v121
	v_fmac_f16_e64 v144, 0x370e, v137
	v_fma_f16 v2, v2, 0x39e0, -v13
	v_mul_f16_e32 v13, 0x2b26, v82
	v_fmac_f16_e64 v143, 0x370e, v139
	s_delay_alu instid0(VALU_DEP_4) | instskip(NEXT) | instid1(VALU_DEP_4)
	v_sub_f16_e64 v146, v142, v144
	v_add_f16_e32 v2, v2, v19
	s_delay_alu instid0(VALU_DEP_4) | instskip(SKIP_2) | instid1(VALU_DEP_3)
	v_fma_f16 v13, v14, 0x39e0, -v13
	v_mul_f16_e32 v14, 0x2b26, v17
	v_add_f16_e64 v145, v143, v141
	v_add_f16_e32 v13, v13, v18
	s_delay_alu instid0(VALU_DEP_3) | instskip(SKIP_1) | instid1(VALU_DEP_4)
	v_fma_f16 v6, v6, 0x39e0, -v14
	v_mul_f16_e32 v14, 0x2b26, v86
	v_pack_b32_f16 v145, v145, v146
	s_delay_alu instid0(VALU_DEP_4) | instskip(NEXT) | instid1(VALU_DEP_4)
	v_add_f16_e32 v16, v0, v13
	v_add_f16_e32 v6, v6, v122
	s_delay_alu instid0(VALU_DEP_4)
	v_fma_f16 v7, v7, 0x39e0, -v14
	v_sub_f16_e32 v14, v2, v3
	v_add_f16_e32 v2, v3, v2
	v_sub_f16_e32 v0, v13, v0
	ds_store_2addr_b32 v181, v134, v145 offset0:76 offset1:125
	v_add_f16_e32 v7, v7, v121
	v_pack_b32_f16 v14, v14, v16
	v_sub_f16_e32 v16, v6, v1
	v_add_f16_e32 v1, v1, v6
	v_pack_b32_f16 v0, v2, v0
	v_sub_f16_e32 v3, v7, v5
	v_sub_f16_e32 v2, v15, v10
	v_add_f16_e32 v17, v5, v7
	s_delay_alu instid0(VALU_DEP_3) | instskip(SKIP_1) | instid1(VALU_DEP_3)
	v_pack_b32_f16 v1, v1, v3
	v_add_f16_e32 v3, v9, v80
	v_pack_b32_f16 v16, v16, v17
	ds_store_2addr_b32 v194, v0, v1 offset0:81 offset1:130
	v_sub_f16_e32 v0, v11, v8
	v_add_f16_e32 v1, v4, v12
	ds_store_2addr_b32 v93, v14, v16 offset0:122 offset1:171
	v_pack_b32_f16 v0, v0, v1
	v_pack_b32_f16 v1, v2, v3
	v_sub_f16_e64 v2, v141, v143
	v_add_f16_e64 v3, v144, v142
	ds_store_2addr_b32 v169, v0, v1 offset0:168 offset1:217
	v_sub_f16_e64 v0, v130, v132
	v_add_f16_e64 v1, v133, v131
	s_delay_alu instid0(VALU_DEP_1)
	v_pack_b32_f16 v0, v0, v1
	v_pack_b32_f16 v1, v2, v3
	ds_store_2addr_b32 v250, v0, v1 offset0:127 offset1:176
	v_or_b32_e32 v0, v124, v123
	ds_store_b32 v152, v0 offset:1176
	global_wb scope:SCOPE_SE
	s_wait_dscnt 0x0
	s_barrier_signal -1
	s_barrier_wait -1
	global_inv scope:SCOPE_SE
	s_clause 0x1
	global_load_b32 v2, v152, s[4:5] offset:9604
	global_load_b32 v4, v152, s[2:3] offset:9408
	ds_load_2addr_b32 v[0:1], v152 offset1:49
	s_wait_dscnt 0x0
	v_lshrrev_b32_e32 v5, 16, v0
	s_wait_loadcnt 0x1
	v_lshrrev_b32_e32 v3, 16, v2
	s_delay_alu instid0(VALU_DEP_1) | instskip(NEXT) | instid1(VALU_DEP_3)
	v_mul_f16_e32 v6, v0, v3
	v_mul_f16_e32 v3, v5, v3
	s_delay_alu instid0(VALU_DEP_2) | instskip(NEXT) | instid1(VALU_DEP_2)
	v_fmac_f16_e32 v6, v5, v2
	v_fma_f16 v0, v0, v2, -v3
	s_delay_alu instid0(VALU_DEP_1)
	v_pack_b32_f16 v0, v0, v6
	ds_store_b32 v152, v0
	s_clause 0x3
	global_load_b32 v0, v152, s[2:3] offset:980
	global_load_b32 v5, v152, s[2:3] offset:1176
	;; [unrolled: 1-line block ×4, first 2 shown]
	ds_load_2addr_b32 v[2:3], v152 offset0:196 offset1:245
	s_wait_dscnt 0x0
	v_lshrrev_b32_e32 v9, 16, v3
	s_wait_loadcnt 0x3
	v_lshrrev_b32_e32 v8, 16, v0
	s_delay_alu instid0(VALU_DEP_1) | instskip(NEXT) | instid1(VALU_DEP_3)
	v_mul_f16_e32 v10, v3, v8
	v_mul_f16_e32 v8, v9, v8
	s_delay_alu instid0(VALU_DEP_2) | instskip(NEXT) | instid1(VALU_DEP_2)
	v_fmac_f16_e32 v10, v9, v0
	v_fma_f16 v0, v3, v0, -v8
	ds_load_2addr_b32 v[8:9], v252 offset0:38 offset1:87
	s_wait_loadcnt 0x2
	v_lshrrev_b32_e32 v3, 16, v5
	v_pack_b32_f16 v0, v0, v10
	s_wait_dscnt 0x0
	v_lshrrev_b32_e32 v11, 16, v8
	s_delay_alu instid0(VALU_DEP_3) | instskip(NEXT) | instid1(VALU_DEP_2)
	v_mul_f16_e32 v12, v8, v3
	v_mul_f16_e32 v3, v11, v3
	s_delay_alu instid0(VALU_DEP_2) | instskip(NEXT) | instid1(VALU_DEP_2)
	v_fmac_f16_e32 v12, v11, v5
	v_fma_f16 v3, v8, v5, -v3
	v_add_nc_u32_e32 v5, 0x200, v152
	s_delay_alu instid0(VALU_DEP_2)
	v_pack_b32_f16 v3, v3, v12
	ds_store_2addr_b32 v5, v0, v3 offset0:117 offset1:166
	s_clause 0x6
	global_load_b32 v0, v152, s[2:3] offset:8232
	global_load_b32 v3, v152, s[2:3] offset:8428
	;; [unrolled: 1-line block ×7, first 2 shown]
	ds_load_2addr_b32 v[10:11], v187 offset0:10 offset1:59
	ds_load_2addr_b32 v[80:81], v169 offset0:168 offset1:217
	s_wait_dscnt 0x1
	v_lshrrev_b32_e32 v16, 16, v10
	s_wait_loadcnt 0x6
	v_lshrrev_b32_e32 v15, 16, v0
	s_delay_alu instid0(VALU_DEP_1) | instskip(NEXT) | instid1(VALU_DEP_3)
	v_mul_f16_e32 v17, v10, v15
	v_mul_f16_e32 v15, v16, v15
	s_delay_alu instid0(VALU_DEP_2) | instskip(NEXT) | instid1(VALU_DEP_2)
	v_fmac_f16_e32 v17, v16, v0
	v_fma_f16 v0, v10, v0, -v15
	s_wait_loadcnt 0x0
	v_lshrrev_b32_e32 v10, 16, v8
	s_wait_dscnt 0x0
	v_lshrrev_b32_e32 v16, 16, v81
	global_load_b32 v15, v152, s[2:3] offset:7840
	v_pack_b32_f16 v0, v0, v17
	v_mul_f16_e32 v18, v81, v10
	v_mul_f16_e32 v10, v16, v10
	s_delay_alu instid0(VALU_DEP_2) | instskip(NEXT) | instid1(VALU_DEP_2)
	v_fmac_f16_e32 v18, v16, v8
	v_fma_f16 v8, v81, v8, -v10
	v_add_nc_u32_e32 v10, 0x1e00, v152
	s_delay_alu instid0(VALU_DEP_2) | instskip(SKIP_3) | instid1(VALU_DEP_1)
	v_pack_b32_f16 v8, v8, v18
	ds_store_2addr_b32 v10, v8, v0 offset0:89 offset1:138
	v_lshrrev_b32_e32 v0, 16, v9
	v_lshrrev_b32_e32 v8, 16, v6
	v_mul_f16_e32 v10, v0, v8
	v_mul_f16_e32 v8, v9, v8
	s_delay_alu instid0(VALU_DEP_2) | instskip(NEXT) | instid1(VALU_DEP_2)
	v_fma_f16 v9, v9, v6, -v10
	v_fmac_f16_e32 v8, v0, v6
	s_clause 0x2
	global_load_b32 v0, v152, s[2:3] offset:196
	global_load_b32 v6, v152, s[2:3] offset:392
	;; [unrolled: 1-line block ×3, first 2 shown]
	v_lshrrev_b32_e32 v10, 16, v1
	ds_load_b32 v17, v152 offset:9408
	v_pack_b32_f16 v8, v9, v8
	s_wait_loadcnt 0x2
	v_lshrrev_b32_e32 v18, 16, v0
	s_delay_alu instid0(VALU_DEP_1) | instskip(SKIP_1) | instid1(VALU_DEP_2)
	v_mul_f16_e32 v19, v10, v18
	v_mul_f16_e32 v18, v1, v18
	v_fma_f16 v19, v1, v0, -v19
	s_delay_alu instid0(VALU_DEP_2)
	v_fmac_f16_e32 v18, v10, v0
	s_clause 0x6
	global_load_b32 v10, v152, s[2:3] offset:1568
	global_load_b32 v81, v152, s[2:3] offset:2940
	global_load_b32 v87, v152, s[2:3] offset:1764
	global_load_b32 v88, v152, s[2:3] offset:1960
	global_load_b32 v123, v152, s[2:3] offset:2156
	global_load_b32 v124, v152, s[2:3] offset:2352
	global_load_b32 v125, v152, s[2:3] offset:2548
	ds_load_2addr_b32 v[0:1], v252 offset0:136 offset1:185
	s_wait_dscnt 0x0
	v_lshrrev_b32_e32 v85, 16, v0
	s_wait_loadcnt 0x6
	v_lshrrev_b32_e32 v82, 16, v10
	s_delay_alu instid0(VALU_DEP_1) | instskip(NEXT) | instid1(VALU_DEP_3)
	v_mul_f16_e32 v86, v0, v82
	v_mul_f16_e32 v82, v85, v82
	s_delay_alu instid0(VALU_DEP_2) | instskip(NEXT) | instid1(VALU_DEP_2)
	v_fmac_f16_e32 v86, v85, v10
	v_fma_f16 v0, v0, v10, -v82
	s_delay_alu instid0(VALU_DEP_1)
	v_pack_b32_f16 v0, v0, v86
	ds_store_2addr_b32 v252, v8, v0 offset0:87 offset1:136
	global_load_b32 v0, v152, s[2:3] offset:2744
	ds_load_2addr_b32 v[8:9], v181 offset0:174 offset1:223
	s_wait_dscnt 0x0
	v_lshrrev_b32_e32 v82, 16, v8
	s_wait_loadcnt 0x0
	v_lshrrev_b32_e32 v10, 16, v0
	s_delay_alu instid0(VALU_DEP_1) | instskip(NEXT) | instid1(VALU_DEP_3)
	v_mul_f16_e32 v126, v8, v10
	v_mul_f16_e32 v10, v82, v10
	s_delay_alu instid0(VALU_DEP_2) | instskip(NEXT) | instid1(VALU_DEP_2)
	v_fmac_f16_e32 v126, v82, v0
	v_fma_f16 v127, v8, v0, -v10
	v_lshrrev_b32_e32 v0, 16, v9
	v_lshrrev_b32_e32 v8, 16, v81
	s_delay_alu instid0(VALU_DEP_1) | instskip(SKIP_1) | instid1(VALU_DEP_2)
	v_mul_f16_e32 v10, v0, v8
	v_mul_f16_e64 v128, v9, v8
	v_fma_f16 v129, v9, v81, -v10
	s_delay_alu instid0(VALU_DEP_2)
	v_fmac_f16_e64 v128, v0, v81
	s_clause 0x3
	global_load_b32 v0, v152, s[2:3] offset:4116
	global_load_b32 v81, v152, s[2:3] offset:4312
	;; [unrolled: 1-line block ×4, first 2 shown]
	ds_load_2addr_b32 v[8:9], v94 offset0:84 offset1:133
	s_wait_dscnt 0x0
	v_lshrrev_b32_e32 v82, 16, v9
	s_wait_loadcnt 0x3
	v_lshrrev_b32_e32 v10, 16, v0
	s_delay_alu instid0(VALU_DEP_1) | instskip(NEXT) | instid1(VALU_DEP_3)
	v_mul_f16_e32 v85, v9, v10
	v_mul_f16_e32 v10, v82, v10
	s_delay_alu instid0(VALU_DEP_2) | instskip(NEXT) | instid1(VALU_DEP_2)
	v_fmac_f16_e32 v85, v82, v0
	v_fma_f16 v0, v9, v0, -v10
	ds_load_2addr_b32 v[9:10], v208 offset0:54 offset1:103
	s_wait_loadcnt 0x2
	v_lshrrev_b32_e32 v82, 16, v81
	v_pack_b32_f16 v0, v0, v85
	s_wait_dscnt 0x0
	v_lshrrev_b32_e32 v86, 16, v9
	s_delay_alu instid0(VALU_DEP_3) | instskip(NEXT) | instid1(VALU_DEP_2)
	v_mul_f16_e32 v121, v9, v82
	v_mul_f16_e32 v82, v86, v82
	s_delay_alu instid0(VALU_DEP_2) | instskip(NEXT) | instid1(VALU_DEP_2)
	v_fmac_f16_e32 v121, v86, v81
	v_fma_f16 v9, v9, v81, -v82
	s_delay_alu instid0(VALU_DEP_1)
	v_pack_b32_f16 v9, v9, v121
	ds_store_2addr_b32 v208, v0, v9 offset0:5 offset1:54
	s_clause 0x4
	global_load_b32 v0, v152, s[2:3] offset:5488
	global_load_b32 v9, v152, s[2:3] offset:5684
	;; [unrolled: 1-line block ×5, first 2 shown]
	ds_load_2addr_b32 v[81:82], v223 offset0:92 offset1:141
	s_wait_dscnt 0x0
	v_lshrrev_b32_e32 v86, 16, v81
	s_wait_loadcnt 0x4
	v_lshrrev_b32_e32 v85, 16, v0
	s_delay_alu instid0(VALU_DEP_1) | instskip(NEXT) | instid1(VALU_DEP_3)
	v_mul_f16_e64 v135, v81, v85
	v_mul_f16_e32 v85, v86, v85
	s_delay_alu instid0(VALU_DEP_2) | instskip(NEXT) | instid1(VALU_DEP_2)
	v_fmac_f16_e64 v135, v86, v0
	v_fma_f16 v136, v81, v0, -v85
	v_lshrrev_b32_e32 v0, 16, v82
	s_wait_loadcnt 0x3
	v_lshrrev_b32_e32 v81, 16, v9
	s_delay_alu instid0(VALU_DEP_1) | instskip(SKIP_1) | instid1(VALU_DEP_2)
	v_mul_f16_e32 v85, v0, v81
	v_mul_f16_e64 v137, v82, v81
	v_fma_f16 v138, v82, v9, -v85
	s_delay_alu instid0(VALU_DEP_2)
	v_fmac_f16_e64 v137, v0, v9
	s_clause 0x5
	global_load_b32 v0, v152, s[2:3] offset:6860
	global_load_b32 v9, v152, s[2:3] offset:7056
	global_load_b32 v139, v152, s[2:3] offset:7252
	global_load_b32 v140, v152, s[2:3] offset:7448
	global_load_b32 v141, v152, s[2:3] offset:7644
	global_load_b32 v142, v152, s[2:3] offset:6664
	ds_load_2addr_b32 v[81:82], v194 offset0:130 offset1:179
	s_wait_dscnt 0x0
	v_lshrrev_b32_e32 v86, 16, v82
	s_wait_loadcnt 0x5
	v_lshrrev_b32_e32 v85, 16, v0
	s_delay_alu instid0(VALU_DEP_1) | instskip(NEXT) | instid1(VALU_DEP_3)
	v_mul_f16_e32 v121, v82, v85
	v_mul_f16_e32 v85, v86, v85
	s_delay_alu instid0(VALU_DEP_2) | instskip(NEXT) | instid1(VALU_DEP_2)
	v_fmac_f16_e32 v121, v86, v0
	v_fma_f16 v0, v82, v0, -v85
	ds_load_2addr_b32 v[85:86], v246 offset0:100 offset1:149
	s_wait_loadcnt 0x4
	v_lshrrev_b32_e32 v82, 16, v9
	v_pack_b32_f16 v0, v0, v121
	s_wait_dscnt 0x0
	v_lshrrev_b32_e32 v122, 16, v85
	s_delay_alu instid0(VALU_DEP_3) | instskip(NEXT) | instid1(VALU_DEP_2)
	v_mul_f16_e64 v143, v85, v82
	v_mul_f16_e32 v82, v122, v82
	s_delay_alu instid0(VALU_DEP_2) | instskip(SKIP_2) | instid1(VALU_DEP_1)
	v_fmac_f16_e64 v143, v122, v9
	ds_load_2addr_b32 v[121:122], v152 offset0:98 offset1:147
	v_fma_f16 v9, v85, v9, -v82
	v_pack_b32_f16 v9, v9, v143
	ds_store_2addr_b32 v194, v0, v9 offset0:179 offset1:228
	v_lshrrev_b32_e32 v0, 16, v11
	v_lshrrev_b32_e32 v9, 16, v3
	s_delay_alu instid0(VALU_DEP_1) | instskip(SKIP_1) | instid1(VALU_DEP_2)
	v_mul_f16_e32 v82, v0, v9
	v_mul_f16_e64 v143, v11, v9
	v_fma_f16 v11, v11, v3, -v82
	s_delay_alu instid0(VALU_DEP_2) | instskip(SKIP_3) | instid1(VALU_DEP_2)
	v_fmac_f16_e64 v143, v0, v3
	v_lshrrev_b32_e32 v0, 16, v6
	s_wait_dscnt 0x1
	v_lshrrev_b32_e32 v3, 16, v121
	v_mul_f16_e32 v9, v121, v0
	s_delay_alu instid0(VALU_DEP_2) | instskip(NEXT) | instid1(VALU_DEP_2)
	v_mul_f16_e32 v0, v3, v0
	v_fmac_f16_e32 v9, v3, v6
	s_delay_alu instid0(VALU_DEP_2) | instskip(SKIP_1) | instid1(VALU_DEP_2)
	v_fma_f16 v0, v121, v6, -v0
	v_pack_b32_f16 v3, v19, v18
	v_pack_b32_f16 v0, v0, v9
	ds_store_2addr_b32 v152, v3, v0 offset0:49 offset1:98
	s_clause 0x3
	global_load_b32 v9, v152, s[2:3] offset:3136
	global_load_b32 v18, v152, s[2:3] offset:3332
	;; [unrolled: 1-line block ×4, first 2 shown]
	v_lshrrev_b32_e32 v0, 16, v1
	v_lshrrev_b32_e32 v3, 16, v87
	s_delay_alu instid0(VALU_DEP_1) | instskip(SKIP_1) | instid1(VALU_DEP_2)
	v_mul_f16_e32 v6, v0, v3
	v_mul_f16_e32 v3, v1, v3
	v_fma_f16 v6, v1, v87, -v6
	s_delay_alu instid0(VALU_DEP_2)
	v_fmac_f16_e32 v3, v0, v87
	ds_load_2addr_b32 v[0:1], v195 offset0:16 offset1:65
	v_pack_b32_f16 v3, v6, v3
	s_wait_dscnt 0x0
	v_lshrrev_b32_e32 v87, 16, v0
	s_wait_loadcnt 0x3
	v_lshrrev_b32_e32 v85, 16, v9
	s_delay_alu instid0(VALU_DEP_1) | instskip(NEXT) | instid1(VALU_DEP_3)
	v_mul_f16_e32 v121, v0, v85
	v_mul_f16_e32 v85, v87, v85
	s_delay_alu instid0(VALU_DEP_2) | instskip(NEXT) | instid1(VALU_DEP_2)
	v_fmac_f16_e32 v121, v87, v9
	v_fma_f16 v0, v0, v9, -v85
	v_pack_b32_f16 v9, v129, v128
	s_delay_alu instid0(VALU_DEP_2) | instskip(SKIP_4) | instid1(VALU_DEP_2)
	v_pack_b32_f16 v0, v0, v121
	ds_store_2addr_b32 v170, v9, v0 offset0:95 offset1:144
	v_lshrrev_b32_e32 v0, 16, v10
	v_lshrrev_b32_e32 v9, 16, v130
	v_mov_b32_e32 v170, v94
	v_mul_f16_e32 v85, v0, v9
	v_mul_f16_e32 v87, v10, v9
	s_delay_alu instid0(VALU_DEP_2)
	v_fma_f16 v128, v10, v130, -v85
	ds_load_2addr_b32 v[9:10], v223 offset0:190 offset1:239
	v_fmac_f16_e64 v87, v0, v130
	v_lshrrev_b32_e32 v0, 16, v132
	s_wait_dscnt 0x0
	v_lshrrev_b32_e32 v85, 16, v9
	s_delay_alu instid0(VALU_DEP_2) | instskip(NEXT) | instid1(VALU_DEP_2)
	v_mul_f16_e32 v121, v9, v0
	v_mul_f16_e32 v0, v85, v0
	s_delay_alu instid0(VALU_DEP_2) | instskip(NEXT) | instid1(VALU_DEP_2)
	v_fmac_f16_e64 v121, v85, v132
	v_fma_f16 v0, v9, v132, -v0
	v_pack_b32_f16 v9, v138, v137
	s_delay_alu instid0(VALU_DEP_2) | instskip(SKIP_3) | instid1(VALU_DEP_1)
	v_pack_b32_f16 v0, v0, v121
	ds_store_2addr_b32 v223, v9, v0 offset0:141 offset1:190
	v_lshrrev_b32_e32 v0, 16, v86
	v_lshrrev_b32_e32 v9, 16, v139
	v_mul_f16_e32 v85, v0, v9
	v_mul_f16_e64 v129, v86, v9
	s_delay_alu instid0(VALU_DEP_2)
	v_fma_f16 v130, v86, v139, -v85
	ds_load_2addr_b32 v[85:86], v187 offset0:108 offset1:157
	v_fmac_f16_e64 v129, v0, v139
	v_lshrrev_b32_e32 v0, 16, v5
	s_wait_dscnt 0x0
	v_lshrrev_b32_e32 v9, 16, v85
	s_delay_alu instid0(VALU_DEP_2) | instskip(NEXT) | instid1(VALU_DEP_2)
	v_mul_f16_e32 v121, v85, v0
	v_mul_f16_e32 v0, v9, v0
	s_delay_alu instid0(VALU_DEP_2) | instskip(NEXT) | instid1(VALU_DEP_2)
	v_fmac_f16_e32 v121, v9, v5
	v_fma_f16 v0, v85, v5, -v0
	v_pack_b32_f16 v5, v11, v143
	s_delay_alu instid0(VALU_DEP_2) | instskip(SKIP_3) | instid1(VALU_DEP_1)
	v_pack_b32_f16 v0, v0, v121
	ds_store_2addr_b32 v187, v5, v0 offset0:59 offset1:108
	v_lshrrev_b32_e32 v0, 16, v122
	v_lshrrev_b32_e32 v5, 16, v16
	v_mul_f16_e32 v9, v0, v5
	v_mul_f16_e32 v5, v122, v5
	s_delay_alu instid0(VALU_DEP_2)
	v_fma_f16 v11, v122, v16, -v9
	ds_load_2addr_b32 v[121:122], v217 offset0:106 offset1:155
	v_fmac_f16_e32 v5, v0, v16
	v_lshrrev_b32_e32 v0, 16, v88
	s_wait_dscnt 0x0
	v_lshrrev_b32_e32 v9, 16, v121
	s_delay_alu instid0(VALU_DEP_2) | instskip(NEXT) | instid1(VALU_DEP_2)
	v_mul_f16_e32 v16, v121, v0
	v_mul_f16_e32 v0, v9, v0
	s_delay_alu instid0(VALU_DEP_2) | instskip(NEXT) | instid1(VALU_DEP_2)
	v_fmac_f16_e32 v16, v9, v88
	v_fma_f16 v0, v121, v88, -v0
	s_delay_alu instid0(VALU_DEP_1) | instskip(SKIP_4) | instid1(VALU_DEP_1)
	v_pack_b32_f16 v0, v0, v16
	ds_store_2addr_b32 v252, v3, v0 offset0:185 offset1:234
	v_lshrrev_b32_e32 v0, 16, v1
	s_wait_loadcnt 0x2
	v_lshrrev_b32_e32 v3, 16, v18
	v_mul_f16_e32 v6, v0, v3
	v_mul_f16_e32 v16, v1, v3
	s_delay_alu instid0(VALU_DEP_2) | instskip(NEXT) | instid1(VALU_DEP_2)
	v_fma_f16 v6, v1, v18, -v6
	v_fmac_f16_e32 v16, v0, v18
	s_clause 0x2
	global_load_b32 v3, v152, s[2:3] offset:4704
	global_load_b32 v18, v152, s[2:3] offset:4900
	global_load_b32 v88, v152, s[2:3] offset:5096
	ds_load_2addr_b32 v[0:1], v208 offset0:152 offset1:201
	s_wait_dscnt 0x0
	v_lshrrev_b32_e32 v85, 16, v0
	s_wait_loadcnt 0x2
	v_lshrrev_b32_e32 v9, 16, v3
	s_delay_alu instid0(VALU_DEP_1) | instskip(NEXT) | instid1(VALU_DEP_3)
	v_mul_f16_e32 v121, v0, v9
	v_mul_f16_e32 v9, v85, v9
	s_delay_alu instid0(VALU_DEP_2) | instskip(NEXT) | instid1(VALU_DEP_2)
	v_fmac_f16_e32 v121, v85, v3
	v_fma_f16 v0, v0, v3, -v9
	v_pack_b32_f16 v3, v128, v87
	s_delay_alu instid0(VALU_DEP_2) | instskip(SKIP_3) | instid1(VALU_DEP_1)
	v_pack_b32_f16 v0, v0, v121
	ds_store_2addr_b32 v208, v3, v0 offset0:103 offset1:152
	v_lshrrev_b32_e32 v0, 16, v10
	v_lshrrev_b32_e32 v3, 16, v133
	v_mul_f16_e32 v9, v0, v3
	v_mul_f16_e32 v85, v10, v3
	s_delay_alu instid0(VALU_DEP_2)
	v_fma_f16 v87, v10, v133, -v9
	ds_load_2addr_b32 v[9:10], v169 offset0:70 offset1:119
	v_fmac_f16_e64 v85, v0, v133
	v_lshrrev_b32_e32 v0, 16, v140
	s_wait_dscnt 0x0
	v_lshrrev_b32_e32 v3, 16, v9
	s_delay_alu instid0(VALU_DEP_2) | instskip(NEXT) | instid1(VALU_DEP_2)
	v_mul_f16_e32 v121, v9, v0
	v_mul_f16_e32 v0, v3, v0
	s_delay_alu instid0(VALU_DEP_2) | instskip(SKIP_1) | instid1(VALU_DEP_3)
	v_fmac_f16_e64 v121, v3, v140
	v_pack_b32_f16 v3, v130, v129
	v_fma_f16 v0, v9, v140, -v0
	s_delay_alu instid0(VALU_DEP_1) | instskip(SKIP_3) | instid1(VALU_DEP_1)
	v_pack_b32_f16 v0, v0, v121
	ds_store_2addr_b32 v169, v3, v0 offset0:21 offset1:70
	v_lshrrev_b32_e32 v0, 16, v2
	v_lshrrev_b32_e32 v3, 16, v7
	v_mul_f16_e32 v9, v0, v3
	v_mul_f16_e32 v3, v2, v3
	s_delay_alu instid0(VALU_DEP_2) | instskip(NEXT) | instid1(VALU_DEP_2)
	v_fma_f16 v2, v2, v7, -v9
	v_fmac_f16_e32 v3, v0, v7
	v_lshrrev_b32_e32 v0, 16, v86
	v_lshrrev_b32_e32 v7, 16, v12
	s_delay_alu instid0(VALU_DEP_3) | instskip(NEXT) | instid1(VALU_DEP_2)
	v_pack_b32_f16 v2, v2, v3
	v_mul_f16_e32 v9, v0, v7
	v_mul_f16_e32 v7, v86, v7
	s_delay_alu instid0(VALU_DEP_2) | instskip(NEXT) | instid1(VALU_DEP_2)
	v_fma_f16 v86, v86, v12, -v9
	v_fmac_f16_e32 v7, v0, v12
	v_pack_b32_f16 v0, v11, v5
	ds_store_2addr_b32 v152, v0, v2 offset0:147 offset1:196
	v_lshrrev_b32_e32 v0, 16, v122
	v_lshrrev_b32_e32 v2, 16, v123
	s_delay_alu instid0(VALU_DEP_1) | instskip(SKIP_1) | instid1(VALU_DEP_2)
	v_mul_f16_e32 v3, v0, v2
	v_mul_f16_e32 v5, v122, v2
	v_fma_f16 v11, v122, v123, -v3
	ds_load_2addr_b32 v[2:3], v195 offset0:114 offset1:163
	v_fmac_f16_e32 v5, v0, v123
	v_lshrrev_b32_e32 v0, 16, v19
	s_wait_dscnt 0x0
	v_lshrrev_b32_e32 v9, 16, v2
	s_delay_alu instid0(VALU_DEP_2) | instskip(NEXT) | instid1(VALU_DEP_2)
	v_mul_f16_e32 v12, v2, v0
	v_mul_f16_e32 v0, v9, v0
	s_delay_alu instid0(VALU_DEP_2) | instskip(NEXT) | instid1(VALU_DEP_2)
	v_fmac_f16_e32 v12, v9, v19
	v_fma_f16 v0, v2, v19, -v0
	v_pack_b32_f16 v2, v6, v16
	s_delay_alu instid0(VALU_DEP_2) | instskip(SKIP_4) | instid1(VALU_DEP_1)
	v_pack_b32_f16 v0, v0, v12
	ds_store_2addr_b32 v195, v2, v0 offset0:65 offset1:114
	v_lshrrev_b32_e32 v0, 16, v1
	s_wait_loadcnt 0x1
	v_lshrrev_b32_e32 v2, 16, v18
	v_mul_f16_e32 v6, v0, v2
	v_mul_f16_e32 v12, v1, v2
	s_clause 0x1
	global_load_b32 v2, v152, s[2:3] offset:6272
	global_load_b32 v16, v152, s[2:3] offset:6468
	v_fma_f16 v6, v1, v18, -v6
	v_fmac_f16_e32 v12, v0, v18
	ds_load_2addr_b32 v[0:1], v194 offset0:32 offset1:81
	s_wait_dscnt 0x0
	v_lshrrev_b32_e32 v18, 16, v0
	s_wait_loadcnt 0x1
	v_lshrrev_b32_e32 v9, 16, v2
	s_delay_alu instid0(VALU_DEP_1) | instskip(NEXT) | instid1(VALU_DEP_3)
	v_mul_f16_e32 v19, v0, v9
	v_mul_f16_e32 v9, v18, v9
	s_delay_alu instid0(VALU_DEP_2) | instskip(NEXT) | instid1(VALU_DEP_2)
	v_fmac_f16_e32 v19, v18, v2
	v_fma_f16 v0, v0, v2, -v9
	v_pack_b32_f16 v2, v87, v85
	s_delay_alu instid0(VALU_DEP_2) | instskip(SKIP_3) | instid1(VALU_DEP_1)
	v_pack_b32_f16 v0, v0, v19
	ds_store_2addr_b32 v20, v2, v0 offset0:111 offset1:160
	v_lshrrev_b32_e32 v0, 16, v10
	v_lshrrev_b32_e32 v2, 16, v141
	v_mul_f16_e32 v9, v0, v2
	v_mul_f16_e32 v18, v10, v2
	s_delay_alu instid0(VALU_DEP_2)
	v_fma_f16 v19, v10, v141, -v9
	ds_load_2addr_b32 v[9:10], v187 offset0:206 offset1:255
	v_fmac_f16_e64 v18, v0, v141
	v_lshrrev_b32_e32 v0, 16, v13
	s_wait_dscnt 0x0
	v_lshrrev_b32_e32 v2, 16, v9
	s_delay_alu instid0(VALU_DEP_2) | instskip(NEXT) | instid1(VALU_DEP_2)
	v_mul_f16_e32 v85, v9, v0
	v_mul_f16_e32 v0, v2, v0
	s_delay_alu instid0(VALU_DEP_2) | instskip(SKIP_1) | instid1(VALU_DEP_3)
	v_fmac_f16_e32 v85, v2, v13
	v_pack_b32_f16 v2, v86, v7
	v_fma_f16 v0, v9, v13, -v0
	s_delay_alu instid0(VALU_DEP_1)
	v_pack_b32_f16 v0, v0, v85
	ds_load_2addr_b32 v[85:86], v181 offset0:76 offset1:125
	ds_store_2addr_b32 v187, v2, v0 offset0:157 offset1:206
	v_lshrrev_b32_e32 v0, 16, v124
	s_wait_dscnt 0x1
	v_lshrrev_b32_e32 v2, 16, v85
	s_delay_alu instid0(VALU_DEP_2) | instskip(NEXT) | instid1(VALU_DEP_2)
	v_mul_f16_e32 v7, v85, v0
	v_mul_f16_e32 v0, v2, v0
	s_delay_alu instid0(VALU_DEP_2) | instskip(SKIP_1) | instid1(VALU_DEP_3)
	v_fmac_f16_e32 v7, v2, v124
	v_pack_b32_f16 v2, v11, v5
	v_fma_f16 v0, v85, v124, -v0
	s_delay_alu instid0(VALU_DEP_1) | instskip(SKIP_3) | instid1(VALU_DEP_1)
	v_pack_b32_f16 v0, v0, v7
	ds_store_2addr_b32 v181, v2, v0 offset0:27 offset1:76
	v_lshrrev_b32_e32 v0, 16, v3
	v_lshrrev_b32_e32 v2, 16, v82
	v_mul_f16_e32 v5, v0, v2
	v_mul_f16_e32 v7, v3, v2
	s_delay_alu instid0(VALU_DEP_2)
	v_fma_f16 v5, v3, v82, -v5
	ds_load_2addr_b32 v[2:3], v93 offset0:122 offset1:171
	v_fmac_f16_e32 v7, v0, v82
	v_lshrrev_b32_e32 v0, 16, v88
	s_wait_dscnt 0x0
	v_lshrrev_b32_e32 v9, 16, v2
	s_delay_alu instid0(VALU_DEP_2) | instskip(NEXT) | instid1(VALU_DEP_2)
	v_mul_f16_e32 v11, v2, v0
	v_mul_f16_e32 v0, v9, v0
	s_delay_alu instid0(VALU_DEP_2) | instskip(SKIP_2) | instid1(VALU_DEP_3)
	v_fmac_f16_e32 v11, v9, v88
	s_wait_loadcnt 0x0
	v_lshrrev_b32_e32 v9, 16, v16
	v_fma_f16 v0, v2, v88, -v0
	v_pack_b32_f16 v2, v6, v12
	s_delay_alu instid0(VALU_DEP_2) | instskip(SKIP_3) | instid1(VALU_DEP_1)
	v_pack_b32_f16 v0, v0, v11
	ds_store_2addr_b32 v208, v2, v0 offset0:201 offset1:250
	v_lshrrev_b32_e32 v0, 16, v80
	v_lshrrev_b32_e32 v2, 16, v15
	v_mul_f16_e32 v6, v0, v2
	v_mul_f16_e32 v2, v80, v2
	s_delay_alu instid0(VALU_DEP_2) | instskip(NEXT) | instid1(VALU_DEP_2)
	v_fma_f16 v6, v80, v15, -v6
	v_fmac_f16_e32 v2, v0, v15
	v_lshrrev_b32_e32 v0, 16, v1
	s_delay_alu instid0(VALU_DEP_2) | instskip(NEXT) | instid1(VALU_DEP_2)
	v_pack_b32_f16 v2, v6, v2
	v_mul_f16_e32 v11, v0, v9
	v_mul_f16_e32 v9, v1, v9
	s_delay_alu instid0(VALU_DEP_2) | instskip(NEXT) | instid1(VALU_DEP_2)
	v_fma_f16 v1, v1, v16, -v11
	v_fmac_f16_e32 v9, v0, v16
	v_pack_b32_f16 v0, v19, v18
	v_lshrrev_b32_e32 v11, 16, v14
	ds_store_2addr_b32 v169, v0, v2 offset0:119 offset1:168
	v_lshrrev_b32_e32 v0, 16, v86
	v_lshrrev_b32_e32 v2, 16, v125
	s_delay_alu instid0(VALU_DEP_1) | instskip(SKIP_1) | instid1(VALU_DEP_2)
	v_mul_f16_e32 v6, v0, v2
	v_mul_f16_e32 v2, v86, v2
	v_fma_f16 v6, v86, v125, -v6
	s_delay_alu instid0(VALU_DEP_2) | instskip(SKIP_1) | instid1(VALU_DEP_2)
	v_fmac_f16_e32 v2, v0, v125
	v_lshrrev_b32_e32 v0, 16, v10
	v_pack_b32_f16 v2, v6, v2
	s_delay_alu instid0(VALU_DEP_2) | instskip(SKIP_1) | instid1(VALU_DEP_2)
	v_mul_f16_e32 v12, v0, v11
	v_mul_f16_e32 v11, v10, v11
	v_fma_f16 v10, v10, v14, -v12
	s_delay_alu instid0(VALU_DEP_2) | instskip(SKIP_4) | instid1(VALU_DEP_1)
	v_fmac_f16_e32 v11, v0, v14
	v_pack_b32_f16 v0, v127, v126
	ds_store_2addr_b32 v181, v2, v0 offset0:125 offset1:174
	v_lshrrev_b32_e32 v0, 16, v8
	v_lshrrev_b32_e32 v2, 16, v131
	v_mul_f16_e32 v6, v0, v2
	v_mul_f16_e32 v2, v8, v2
	s_delay_alu instid0(VALU_DEP_2) | instskip(NEXT) | instid1(VALU_DEP_2)
	v_fma_f16 v6, v8, v131, -v6
	v_fmac_f16_e64 v2, v0, v131
	v_lshrrev_b32_e32 v0, 16, v3
	v_lshrrev_b32_e32 v8, 16, v134
	s_delay_alu instid0(VALU_DEP_3) | instskip(NEXT) | instid1(VALU_DEP_2)
	v_pack_b32_f16 v2, v6, v2
	v_mul_f16_e32 v12, v0, v8
	v_mul_f16_e32 v8, v3, v8
	s_delay_alu instid0(VALU_DEP_2) | instskip(NEXT) | instid1(VALU_DEP_2)
	v_fma_f16 v3, v3, v134, -v12
	v_fmac_f16_e64 v8, v0, v134
	v_pack_b32_f16 v0, v5, v7
	v_lshrrev_b32_e32 v5, 16, v4
	ds_store_2addr_b32 v195, v0, v2 offset0:163 offset1:212
	v_pack_b32_f16 v0, v136, v135
	v_pack_b32_f16 v2, v3, v8
	ds_store_2addr_b32 v223, v2, v0 offset0:43 offset1:92
	v_lshrrev_b32_e32 v0, 16, v81
	v_lshrrev_b32_e32 v2, 16, v142
	s_delay_alu instid0(VALU_DEP_1) | instskip(SKIP_1) | instid1(VALU_DEP_2)
	v_mul_f16_e32 v3, v0, v2
	v_mul_f16_e32 v2, v81, v2
	v_fma_f16 v3, v81, v142, -v3
	s_delay_alu instid0(VALU_DEP_2) | instskip(SKIP_1) | instid1(VALU_DEP_1)
	v_fmac_f16_e64 v2, v0, v142
	v_lshrrev_b32_e32 v0, 16, v17
	v_mul_f16_e32 v6, v0, v5
	v_mul_f16_e32 v5, v17, v5
	s_delay_alu instid0(VALU_DEP_2) | instskip(NEXT) | instid1(VALU_DEP_2)
	v_fma_f16 v6, v17, v4, -v6
	v_fmac_f16_e32 v5, v0, v4
	v_pack_b32_f16 v0, v1, v9
	v_pack_b32_f16 v1, v3, v2
	ds_store_2addr_b32 v194, v0, v1 offset0:81 offset1:130
	v_pack_b32_f16 v0, v10, v11
	v_pack_b32_f16 v1, v6, v5
	ds_store_2addr_b32 v250, v0, v1 offset0:127 offset1:176
	global_wb scope:SCOPE_SE
	s_wait_dscnt 0x0
	s_barrier_signal -1
	s_barrier_wait -1
	global_inv scope:SCOPE_SE
	ds_load_2addr_b32 v[121:122], v252 offset0:38 offset1:87
	ds_load_2addr_b32 v[131:132], v187 offset0:10 offset1:59
	;; [unrolled: 1-line block ×6, first 2 shown]
	ds_load_2addr_b32 v[138:139], v152 offset1:49
	s_wait_dscnt 0x6
	v_lshrrev_b32_e32 v0, 16, v122
	s_wait_dscnt 0x5
	v_lshrrev_b32_e32 v1, 16, v131
	;; [unrolled: 2-line block ×3, first 2 shown]
	v_add_f16_e64 v7, v133, v124
	s_wait_dscnt 0x1
	v_lshrrev_b32_e32 v5, 16, v135
	v_add_f16_e32 v2, v0, v1
	v_sub_f16_e32 v0, v0, v1
	v_lshrrev_b32_e32 v1, 16, v133
	v_add_f16_e64 v8, v126, v135
	s_delay_alu instid0(VALU_DEP_2) | instskip(SKIP_2) | instid1(VALU_DEP_4)
	v_add_f16_e32 v4, v1, v3
	v_sub_f16_e32 v1, v1, v3
	v_lshrrev_b32_e32 v3, 16, v126
	v_sub_f16_e32 v87, v8, v7
	s_delay_alu instid0(VALU_DEP_4) | instskip(NEXT) | instid1(VALU_DEP_4)
	v_sub_f16_e32 v86, v4, v2
	v_sub_f16_e32 v84, v1, v0
	s_delay_alu instid0(VALU_DEP_4) | instskip(SKIP_2) | instid1(VALU_DEP_4)
	v_add_f16_e32 v6, v3, v5
	v_sub_f16_e32 v3, v5, v3
	v_add_f16_e64 v5, v122, v131
	v_mul_f16_e32 v12, 0x3b00, v84
	s_delay_alu instid0(VALU_DEP_4) | instskip(NEXT) | instid1(VALU_DEP_4)
	v_sub_f16_e32 v85, v6, v4
	v_sub_f16_e32 v127, v0, v3
	s_delay_alu instid0(VALU_DEP_4)
	v_add_f16_e32 v9, v7, v5
	v_sub_f16_e32 v88, v7, v5
	v_sub_f16_e32 v5, v5, v8
	v_sub_f16_e64 v128, v3, v1
	v_fmac_f16_e32 v12, 0x3574, v127
	v_add_f16_e32 v7, v8, v9
	v_add_f16_e32 v8, v4, v2
	v_sub_f16_e32 v2, v2, v6
	v_sub_f16_e64 v9, v122, v131
	v_mul_f16_e64 v129, 0x3a52, v5
	s_wait_dscnt 0x0
	v_add_f16_e64 v17, v7, v138
	v_add_f16_e32 v4, v6, v8
	v_sub_f16_e64 v6, v133, v124
	v_sub_f16_e64 v8, v135, v126
	v_mul_f16_e64 v130, 0x3a52, v2
	v_and_b32_e32 v124, 0xffff, v17
	v_fmac_f16_e32 v17, 0xbcab, v7
	v_sub_f16_e64 v135, v6, v9
	v_add_f16_e32 v10, v8, v6
	v_sub_f16_e32 v126, v8, v6
	v_add_f16_e32 v6, v3, v1
	v_sub_f16_e32 v122, v9, v8
	v_mul_f16_e64 v13, 0x3b00, v135
	v_add_f16_e64 v133, v10, v9
	v_mul_f16_e64 v19, 0x3846, v128
	v_add_f16_e32 v20, v6, v0
	v_lshrrev_b32_e32 v0, 16, v138
	v_fmac_f16_e32 v13, 0x3574, v122
	v_fma_f16 v1, 0x2b26, v85, v130
	v_fmamk_f16 v94, v127, 0xb574, v19
	v_fmac_f16_e32 v12, 0xb70e, v20
	v_add_f16_e32 v14, v4, v0
	v_fma_f16 v0, v88, 0xb9e0, -v129
	v_fmac_f16_e64 v13, 0xb70e, v133
	v_fmac_f16_e32 v94, 0xb70e, v20
	v_fma_f16 v19, v84, 0xbb00, -v19
	v_lshlrev_b32_e32 v93, 16, v14
	v_fmac_f16_e32 v14, 0xbcab, v4
	v_add_f16_e32 v82, v0, v17
	v_fma_f16 v0, v86, 0xb9e0, -v130
	v_mul_f16_e32 v4, 0x3846, v126
	v_fmac_f16_e32 v19, 0xb70e, v20
	v_add_f16_e32 v5, v1, v14
	s_delay_alu instid0(VALU_DEP_4) | instskip(SKIP_3) | instid1(VALU_DEP_4)
	v_add_f16_e32 v83, v0, v14
	v_add_f16_e32 v0, v12, v82
	v_fmamk_f16 v2, v122, 0xb574, v4
	v_fma_f16 v4, v135, 0xbb00, -v4
	v_sub_f16_e64 v131, v83, v13
	s_delay_alu instid0(VALU_DEP_3) | instskip(NEXT) | instid1(VALU_DEP_3)
	v_fmac_f16_e64 v2, 0xb70e, v133
	v_fmac_f16_e64 v4, 0xb70e, v133
	s_delay_alu instid0(VALU_DEP_3) | instskip(SKIP_1) | instid1(VALU_DEP_4)
	v_pack_b32_f16 v18, v0, v131
	v_fma_f16 v0, 0x2b26, v87, v129
	v_sub_f16_e32 v1, v5, v2
	v_add_f16_e32 v2, v2, v5
	v_add_f16_e32 v5, v13, v83
	s_delay_alu instid0(VALU_DEP_4) | instskip(NEXT) | instid1(VALU_DEP_1)
	v_add_f16_e32 v3, v0, v17
	v_add_f16_e32 v0, v3, v94
	v_sub_f16_e32 v3, v3, v94
	s_delay_alu instid0(VALU_DEP_2)
	v_pack_b32_f16 v21, v0, v1
	ds_load_b32 v122, v152 offset:9408
	ds_load_2addr_b32 v[250:251], v252 offset0:136 offset1:185
	ds_load_2addr_b32 v[15:16], v208 offset0:54 offset1:103
	;; [unrolled: 1-line block ×17, first 2 shown]
	global_wb scope:SCOPE_SE
	s_wait_dscnt 0x0
	s_barrier_signal -1
	s_barrier_wait -1
	global_inv scope:SCOPE_SE
	ds_store_2addr_b32 v164, v21, v18 offset0:1 offset1:2
	v_mul_f16_e32 v18, 0x2b26, v87
	v_mul_f16_e32 v21, 0x2b26, v85
	v_pack_b32_f16 v2, v3, v2
	v_add_f16_e64 v13, v134, v0
	s_delay_alu instid0(VALU_DEP_4) | instskip(NEXT) | instid1(VALU_DEP_4)
	v_fma_f16 v18, v88, 0x39e0, -v18
	v_fma_f16 v21, v86, 0x39e0, -v21
	s_delay_alu instid0(VALU_DEP_2) | instskip(NEXT) | instid1(VALU_DEP_2)
	v_add_f16_e32 v17, v18, v17
	v_add_f16_e32 v14, v21, v14
	s_delay_alu instid0(VALU_DEP_2) | instskip(SKIP_1) | instid1(VALU_DEP_3)
	v_sub_f16_e32 v18, v17, v19
	v_add_f16_e32 v17, v19, v17
	v_sub_f16_e32 v19, v14, v4
	v_add_f16_e32 v4, v4, v14
	s_delay_alu instid0(VALU_DEP_2) | instskip(NEXT) | instid1(VALU_DEP_2)
	v_pack_b32_f16 v14, v17, v19
	v_pack_b32_f16 v4, v18, v4
	v_add_f16_e64 v18, v15, v136
	v_sub_f16_e64 v19, v136, v15
	v_lshrrev_b32_e32 v15, 16, v15
	ds_store_2addr_b32 v164, v4, v14 offset0:3 offset1:4
	v_sub_f16_e32 v4, v82, v12
	v_sub_f16_e64 v14, v134, v0
	v_lshrrev_b32_e32 v0, 16, v0
	s_delay_alu instid0(VALU_DEP_3)
	v_pack_b32_f16 v3, v4, v5
	v_lshrrev_b32_e32 v5, 16, v250
	v_sub_f16_e64 v4, v250, v132
	v_sub_f16_e32 v23, v19, v14
	ds_store_2addr_b32 v164, v3, v2 offset0:5 offset1:6
	v_or_b32_e32 v2, v93, v124
	v_add_f16_e64 v3, v250, v132
	ds_store_b32 v164, v2
	v_lshrrev_b32_e32 v2, 16, v132
	v_sub_f16_e32 v21, v13, v3
	s_delay_alu instid0(VALU_DEP_2) | instskip(SKIP_2) | instid1(VALU_DEP_1)
	v_add_f16_e32 v12, v5, v2
	v_sub_f16_e32 v2, v5, v2
	v_lshrrev_b32_e32 v5, 16, v134
	v_add_f16_e32 v17, v5, v0
	v_sub_f16_e32 v0, v5, v0
	v_lshrrev_b32_e32 v5, 16, v136
	s_delay_alu instid0(VALU_DEP_3) | instskip(NEXT) | instid1(VALU_DEP_2)
	v_sub_f16_e32 v22, v17, v12
	v_add_f16_e32 v20, v15, v5
	v_sub_f16_e32 v5, v5, v15
	v_add_f16_e32 v15, v13, v3
	v_sub_f16_e32 v3, v3, v18
	v_sub_f16_e32 v13, v18, v13
	s_delay_alu instid0(VALU_DEP_4) | instskip(NEXT) | instid1(VALU_DEP_4)
	v_add_f16_e32 v83, v5, v0
	v_add_f16_e32 v15, v18, v15
	;; [unrolled: 1-line block ×3, first 2 shown]
	v_sub_f16_e32 v12, v12, v20
	v_sub_f16_e32 v17, v20, v17
	;; [unrolled: 1-line block ×3, first 2 shown]
	v_add_f16_e64 v82, v15, v139
	v_add_f16_e32 v18, v20, v18
	v_add_f16_e32 v20, v19, v14
	v_sub_f16_e32 v19, v4, v19
	v_sub_f16_e32 v14, v14, v4
	;; [unrolled: 1-line block ×4, first 2 shown]
	v_add_f16_e32 v4, v20, v4
	v_lshrrev_b32_e32 v20, 16, v139
	v_add_f16_e32 v2, v83, v2
	v_and_b32_e32 v83, 0xffff, v82
	v_fmac_f16_e32 v82, 0xbcab, v15
	v_mul_f16_e32 v3, 0x3a52, v3
	v_add_f16_e32 v15, v18, v20
	v_mul_f16_e32 v12, 0x3a52, v12
	s_delay_alu instid0(VALU_DEP_2) | instskip(SKIP_4) | instid1(VALU_DEP_3)
	v_lshlrev_b32_e32 v20, 16, v15
	v_fmac_f16_e32 v15, 0xbcab, v18
	v_mul_f16_e32 v18, 0x2b26, v13
	v_fmamk_f16 v13, v13, 0x2b26, v3
	v_fma_f16 v3, v21, 0xb9e0, -v3
	v_fma_f16 v18, v21, 0x39e0, -v18
	v_mul_f16_e32 v21, 0x3846, v84
	v_mul_f16_e32 v84, 0x3b00, v0
	v_add_f16_e32 v13, v13, v82
	v_add_f16_e32 v3, v3, v82
	;; [unrolled: 1-line block ×3, first 2 shown]
	v_fma_f16 v0, v0, 0xbb00, -v21
	v_fmac_f16_e32 v84, 0x3574, v5
	v_fmamk_f16 v5, v5, 0xb574, v21
	v_mul_f16_e32 v21, 0x2b26, v17
	v_fmamk_f16 v17, v17, 0x2b26, v12
	v_fma_f16 v12, v22, 0xb9e0, -v12
	v_fmac_f16_e32 v0, 0xb70e, v2
	v_fmac_f16_e32 v5, 0xb70e, v2
	v_fma_f16 v21, v22, 0x39e0, -v21
	v_mul_f16_e32 v22, 0x3846, v23
	v_mul_f16_e32 v23, 0x3b00, v14
	v_add_f16_e32 v12, v12, v15
	v_add_f16_e32 v17, v17, v15
	;; [unrolled: 1-line block ×3, first 2 shown]
	v_fma_f16 v14, v14, 0xbb00, -v22
	v_fmac_f16_e32 v23, 0x3574, v19
	v_fmamk_f16 v19, v19, 0xb574, v22
	v_sub_f16_e32 v21, v18, v0
	v_add_f16_e32 v0, v0, v18
	v_fmac_f16_e32 v14, 0xb70e, v4
	v_fmac_f16_e32 v84, 0xb70e, v2
	;; [unrolled: 1-line block ×4, first 2 shown]
	v_sub_f16_e32 v4, v13, v5
	v_sub_f16_e32 v18, v15, v14
	v_add_f16_e32 v14, v14, v15
	s_delay_alu instid0(VALU_DEP_4) | instskip(NEXT) | instid1(VALU_DEP_3)
	v_add_f16_e32 v15, v23, v12
	v_pack_b32_f16 v0, v0, v18
	s_delay_alu instid0(VALU_DEP_3) | instskip(SKIP_1) | instid1(VALU_DEP_1)
	v_pack_b32_f16 v2, v21, v14
	v_add_f16_e32 v14, v19, v17
	v_pack_b32_f16 v4, v4, v14
	v_sub_f16_e32 v14, v3, v84
	s_delay_alu instid0(VALU_DEP_1)
	v_pack_b32_f16 v14, v14, v15
	ds_store_2addr_b32 v190, v2, v0 offset0:3 offset1:4
	ds_store_2addr_b32 v190, v14, v4 offset0:5 offset1:6
	v_add_f16_e32 v0, v84, v3
	v_sub_f16_e32 v2, v12, v23
	v_add_f16_e32 v3, v13, v5
	v_sub_f16_e32 v4, v17, v19
	v_add_f16_e32 v12, v6, v1
	v_add_f16_e32 v14, v16, v8
	v_pack_b32_f16 v0, v0, v2
	v_sub_f16_e32 v15, v8, v16
	v_pack_b32_f16 v2, v3, v4
	v_or_b32_e32 v3, v20, v83
	ds_store_2addr_b32 v190, v2, v0 offset0:1 offset1:2
	ds_store_b32 v190, v3
	v_lshrrev_b32_e32 v0, 16, v251
	v_lshrrev_b32_e32 v4, 16, v80
	v_add_f16_e64 v2, v251, v80
	v_lshrrev_b32_e32 v8, 16, v8
	v_sub_f16_e64 v3, v251, v80
	s_delay_alu instid0(VALU_DEP_4)
	v_add_f16_e32 v5, v0, v4
	v_sub_f16_e32 v0, v0, v4
	v_lshrrev_b32_e32 v4, 16, v1
	v_sub_f16_e32 v1, v6, v1
	v_lshrrev_b32_e32 v6, 16, v6
	v_sub_f16_e32 v17, v12, v2
	s_delay_alu instid0(VALU_DEP_3) | instskip(NEXT) | instid1(VALU_DEP_3)
	v_sub_f16_e32 v19, v15, v1
	v_add_f16_e32 v13, v6, v4
	v_sub_f16_e32 v4, v6, v4
	v_lshrrev_b32_e32 v6, 16, v16
	s_delay_alu instid0(VALU_DEP_3) | instskip(NEXT) | instid1(VALU_DEP_2)
	v_sub_f16_e32 v18, v13, v5
	v_add_f16_e32 v16, v6, v8
	v_sub_f16_e32 v6, v8, v6
	v_add_f16_e32 v8, v12, v2
	v_sub_f16_e32 v2, v2, v14
	v_sub_f16_e32 v12, v14, v12
	s_delay_alu instid0(VALU_DEP_4) | instskip(NEXT) | instid1(VALU_DEP_4)
	v_sub_f16_e32 v20, v6, v4
	v_add_f16_e32 v8, v14, v8
	v_add_f16_e32 v14, v13, v5
	v_sub_f16_e32 v5, v5, v16
	v_sub_f16_e32 v13, v16, v13
	v_mul_f16_e32 v2, 0x3a52, v2
	s_delay_alu instid0(VALU_DEP_4) | instskip(SKIP_4) | instid1(VALU_DEP_4)
	v_add_f16_e32 v14, v16, v14
	v_add_f16_e32 v16, v15, v1
	v_sub_f16_e32 v15, v3, v15
	v_sub_f16_e32 v1, v1, v3
	v_mul_f16_e32 v5, 0x3a52, v5
	v_add_f16_e32 v3, v16, v3
	v_add_f16_e32 v16, v6, v4
	v_sub_f16_e32 v6, v0, v6
	v_sub_f16_e32 v4, v4, v0
	s_delay_alu instid0(VALU_DEP_3) | instskip(SKIP_1) | instid1(VALU_DEP_1)
	v_add_f16_e32 v0, v16, v0
	v_add_f16_e32 v16, v8, v10
	v_and_b32_e32 v21, 0xffff, v16
	v_fmac_f16_e32 v16, 0xbcab, v8
	v_lshrrev_b32_e32 v8, 16, v10
	s_delay_alu instid0(VALU_DEP_1) | instskip(NEXT) | instid1(VALU_DEP_1)
	v_add_f16_e32 v8, v14, v8
	v_lshlrev_b32_e32 v10, 16, v8
	v_fmac_f16_e32 v8, 0xbcab, v14
	v_mul_f16_e32 v14, 0x2b26, v12
	v_fmamk_f16 v12, v12, 0x2b26, v2
	v_fma_f16 v2, v17, 0xb9e0, -v2
	s_delay_alu instid0(VALU_DEP_3) | instskip(SKIP_2) | instid1(VALU_DEP_4)
	v_fma_f16 v14, v17, 0x39e0, -v14
	v_mul_f16_e32 v17, 0x3846, v20
	v_mul_f16_e32 v20, 0x3b00, v4
	v_add_f16_e32 v2, v2, v16
	v_add_f16_e32 v12, v12, v16
	;; [unrolled: 1-line block ×3, first 2 shown]
	v_fma_f16 v4, v4, 0xbb00, -v17
	v_fmac_f16_e32 v20, 0x3574, v6
	v_fmamk_f16 v6, v6, 0xb574, v17
	v_mul_f16_e32 v17, 0x2b26, v13
	v_fmamk_f16 v13, v13, 0x2b26, v5
	v_fma_f16 v5, v18, 0xb9e0, -v5
	v_fmac_f16_e32 v4, 0xb70e, v0
	v_fmac_f16_e32 v6, 0xb70e, v0
	v_fma_f16 v17, v18, 0x39e0, -v17
	v_mul_f16_e32 v18, 0x3846, v19
	v_mul_f16_e32 v19, 0x3b00, v1
	v_add_f16_e32 v5, v5, v8
	v_add_f16_e32 v13, v13, v8
	;; [unrolled: 1-line block ×3, first 2 shown]
	v_fma_f16 v1, v1, 0xbb00, -v18
	v_fmac_f16_e32 v19, 0x3574, v15
	v_fmamk_f16 v15, v15, 0xb574, v18
	v_sub_f16_e32 v16, v14, v4
	v_add_f16_e32 v4, v4, v14
	v_fmac_f16_e32 v1, 0xb70e, v3
	v_fmac_f16_e32 v20, 0xb70e, v0
	;; [unrolled: 1-line block ×4, first 2 shown]
	v_sub_f16_e32 v3, v12, v6
	v_sub_f16_e32 v14, v8, v1
	v_add_f16_e32 v1, v1, v8
	s_delay_alu instid0(VALU_DEP_4) | instskip(NEXT) | instid1(VALU_DEP_3)
	v_add_f16_e32 v8, v19, v5
	v_pack_b32_f16 v0, v4, v14
	v_add_f16_e32 v4, v15, v13
	s_delay_alu instid0(VALU_DEP_4) | instskip(NEXT) | instid1(VALU_DEP_2)
	v_pack_b32_f16 v1, v16, v1
	v_pack_b32_f16 v3, v3, v4
	v_sub_f16_e32 v4, v2, v20
	s_delay_alu instid0(VALU_DEP_1)
	v_pack_b32_f16 v4, v4, v8
	ds_store_2addr_b32 v229, v1, v0 offset0:3 offset1:4
	ds_store_2addr_b32 v229, v4, v3 offset0:5 offset1:6
	v_add_f16_e32 v0, v20, v2
	v_sub_f16_e32 v1, v5, v19
	v_add_f16_e32 v2, v12, v6
	v_sub_f16_e32 v3, v13, v15
	v_add_f16_e64 v5, v7, v148
	v_sub_f16_e64 v6, v7, v148
	v_pack_b32_f16 v0, v0, v1
	v_lshrrev_b32_e32 v12, 16, v146
	v_pack_b32_f16 v1, v2, v3
	v_or_b32_e32 v2, v10, v21
	ds_store_2addr_b32 v229, v1, v0 offset0:1 offset1:2
	ds_store_b32 v229, v2
	v_lshrrev_b32_e32 v0, 16, v81
	v_lshrrev_b32_e32 v3, 16, v150
	v_add_f16_e64 v1, v150, v81
	v_add_f16_e64 v10, v146, v9
	v_sub_f16_e64 v2, v150, v81
	v_lshrrev_b32_e32 v19, 16, v233
	v_add_f16_e32 v4, v3, v0
	v_sub_f16_e32 v0, v3, v0
	v_lshrrev_b32_e32 v3, 16, v7
	v_lshrrev_b32_e32 v7, 16, v148
	v_sub_f16_e32 v14, v5, v1
	s_delay_alu instid0(VALU_DEP_2) | instskip(SKIP_3) | instid1(VALU_DEP_4)
	v_add_f16_e32 v8, v3, v7
	v_sub_f16_e32 v3, v3, v7
	v_lshrrev_b32_e32 v7, 16, v9
	v_sub_f16_e64 v9, v9, v146
	v_sub_f16_e32 v15, v8, v4
	s_delay_alu instid0(VALU_DEP_3)
	v_add_f16_e32 v13, v12, v7
	v_sub_f16_e32 v7, v7, v12
	v_add_f16_e32 v12, v5, v1
	v_sub_f16_e32 v1, v1, v10
	v_sub_f16_e32 v5, v10, v5
	;; [unrolled: 1-line block ×3, first 2 shown]
	v_add_f16_e32 v17, v7, v3
	v_add_f16_e32 v10, v10, v12
	;; [unrolled: 1-line block ×3, first 2 shown]
	v_sub_f16_e32 v4, v4, v13
	v_sub_f16_e32 v8, v13, v8
	;; [unrolled: 1-line block ×4, first 2 shown]
	v_add_f16_e32 v12, v13, v12
	v_add_f16_e32 v13, v9, v6
	v_sub_f16_e32 v9, v2, v9
	v_sub_f16_e32 v6, v6, v2
	v_sub_f16_e32 v3, v3, v0
	v_add_f16_e32 v0, v17, v0
	v_add_f16_e32 v2, v13, v2
	v_lshrrev_b32_e32 v13, 16, v11
	v_add_f16_e32 v11, v10, v11
	v_mul_f16_e32 v1, 0x3a52, v1
	v_mul_f16_e32 v4, 0x3a52, v4
	s_delay_alu instid0(VALU_DEP_3) | instskip(SKIP_2) | instid1(VALU_DEP_1)
	v_and_b32_e32 v17, 0xffff, v11
	v_fmac_f16_e32 v11, 0xbcab, v10
	v_add_f16_e32 v10, v12, v13
	v_lshlrev_b32_e32 v13, 16, v10
	v_fmac_f16_e32 v10, 0xbcab, v12
	v_mul_f16_e32 v12, 0x2b26, v5
	v_fmamk_f16 v5, v5, 0x2b26, v1
	v_fma_f16 v1, v14, 0xb9e0, -v1
	s_delay_alu instid0(VALU_DEP_3) | instskip(SKIP_2) | instid1(VALU_DEP_4)
	v_fma_f16 v12, v14, 0x39e0, -v12
	v_mul_f16_e32 v14, 0x3846, v18
	v_mul_f16_e32 v18, 0x3b00, v3
	v_add_f16_e32 v1, v1, v11
	v_add_f16_e32 v5, v5, v11
	v_add_f16_e32 v11, v12, v11
	v_fma_f16 v3, v3, 0xbb00, -v14
	v_fmac_f16_e32 v18, 0x3574, v7
	v_fmamk_f16 v7, v7, 0xb574, v14
	v_mul_f16_e32 v14, 0x2b26, v8
	v_fmamk_f16 v8, v8, 0x2b26, v4
	v_fma_f16 v4, v15, 0xb9e0, -v4
	v_fmac_f16_e32 v3, 0xb70e, v0
	v_fmac_f16_e32 v7, 0xb70e, v0
	v_fma_f16 v14, v15, 0x39e0, -v14
	v_mul_f16_e32 v15, 0x3846, v16
	v_mul_f16_e32 v16, 0x3b00, v6
	v_add_f16_e32 v4, v4, v10
	v_add_f16_e32 v8, v8, v10
	;; [unrolled: 1-line block ×3, first 2 shown]
	v_fma_f16 v6, v6, 0xbb00, -v15
	v_fmac_f16_e32 v16, 0x3574, v9
	v_fmamk_f16 v9, v9, 0xb574, v15
	v_sub_f16_e32 v12, v11, v3
	v_add_f16_e32 v3, v3, v11
	v_fmac_f16_e32 v6, 0xb70e, v2
	v_fmac_f16_e32 v18, 0xb70e, v0
	;; [unrolled: 1-line block ×4, first 2 shown]
	s_delay_alu instid0(VALU_DEP_4) | instskip(SKIP_1) | instid1(VALU_DEP_3)
	v_sub_f16_e32 v11, v10, v6
	v_add_f16_e32 v6, v6, v10
	v_add_f16_e32 v10, v16, v4
	s_delay_alu instid0(VALU_DEP_3) | instskip(NEXT) | instid1(VALU_DEP_3)
	v_pack_b32_f16 v0, v3, v11
	v_pack_b32_f16 v2, v12, v6
	v_sub_f16_e32 v3, v5, v7
	v_add_f16_e32 v6, v9, v8
	v_lshrrev_b32_e32 v11, 16, v140
	s_delay_alu instid0(VALU_DEP_2) | instskip(SKIP_1) | instid1(VALU_DEP_1)
	v_pack_b32_f16 v3, v3, v6
	v_sub_f16_e32 v6, v1, v18
	v_pack_b32_f16 v6, v6, v10
	ds_store_2addr_b32 v218, v2, v0 offset0:3 offset1:4
	ds_store_2addr_b32 v218, v6, v3 offset0:5 offset1:6
	v_add_f16_e32 v0, v18, v1
	v_sub_f16_e32 v1, v4, v16
	v_add_f16_e32 v2, v5, v7
	v_sub_f16_e32 v3, v8, v9
	v_lshrrev_b32_e32 v7, 16, v142
	v_add_f16_e64 v5, v142, v149
	v_pack_b32_f16 v0, v0, v1
	v_add_f16_e64 v9, v147, v140
	v_pack_b32_f16 v1, v2, v3
	v_or_b32_e32 v2, v13, v17
	ds_store_2addr_b32 v218, v1, v0 offset0:1 offset1:2
	ds_store_b32 v218, v2
	v_lshrrev_b32_e32 v0, 16, v151
	v_lshrrev_b32_e32 v3, 16, v144
	v_add_f16_e64 v1, v151, v144
	v_sub_f16_e64 v6, v142, v149
	v_sub_f16_e64 v10, v140, v147
	;; [unrolled: 1-line block ×3, first 2 shown]
	v_add_f16_e32 v4, v0, v3
	v_sub_f16_e32 v0, v0, v3
	v_lshrrev_b32_e32 v3, 16, v149
	v_sub_f16_e32 v13, v5, v1
	v_sub_f16_e32 v15, v10, v6
	s_delay_alu instid0(VALU_DEP_3) | instskip(SKIP_2) | instid1(VALU_DEP_3)
	v_add_f16_e32 v8, v7, v3
	v_sub_f16_e32 v3, v7, v3
	v_lshrrev_b32_e32 v7, 16, v147
	v_sub_f16_e32 v14, v8, v4
	s_delay_alu instid0(VALU_DEP_2) | instskip(SKIP_4) | instid1(VALU_DEP_4)
	v_add_f16_e32 v12, v7, v11
	v_sub_f16_e32 v7, v11, v7
	v_add_f16_e32 v11, v5, v1
	v_sub_f16_e32 v1, v1, v9
	v_sub_f16_e32 v5, v9, v5
	;; [unrolled: 1-line block ×3, first 2 shown]
	s_delay_alu instid0(VALU_DEP_4) | instskip(SKIP_4) | instid1(VALU_DEP_4)
	v_add_f16_e32 v9, v9, v11
	v_add_f16_e32 v11, v8, v4
	v_sub_f16_e32 v4, v4, v12
	v_sub_f16_e32 v8, v12, v8
	v_mul_f16_e32 v1, 0x3a52, v1
	v_add_f16_e32 v11, v12, v11
	v_add_f16_e32 v12, v10, v6
	v_sub_f16_e32 v10, v2, v10
	v_sub_f16_e32 v6, v6, v2
	v_mul_f16_e32 v4, 0x3a52, v4
	s_delay_alu instid0(VALU_DEP_4) | instskip(SKIP_3) | instid1(VALU_DEP_3)
	v_add_f16_e32 v2, v12, v2
	v_add_f16_e32 v12, v7, v3
	v_sub_f16_e32 v7, v0, v7
	v_sub_f16_e32 v3, v3, v0
	v_add_f16_e32 v0, v12, v0
	v_add_f16_e64 v12, v9, v137
	s_delay_alu instid0(VALU_DEP_1) | instskip(SKIP_2) | instid1(VALU_DEP_1)
	v_and_b32_e32 v17, 0xffff, v12
	v_fmac_f16_e32 v12, 0xbcab, v9
	v_lshrrev_b32_e32 v9, 16, v137
	v_add_f16_e32 v9, v11, v9
	s_delay_alu instid0(VALU_DEP_1) | instskip(SKIP_4) | instid1(VALU_DEP_3)
	v_lshlrev_b32_e32 v18, 16, v9
	v_fmac_f16_e32 v9, 0xbcab, v11
	v_mul_f16_e32 v11, 0x2b26, v5
	v_fmamk_f16 v5, v5, 0x2b26, v1
	v_fma_f16 v1, v13, 0xb9e0, -v1
	v_fma_f16 v11, v13, 0x39e0, -v11
	v_mul_f16_e32 v13, 0x3846, v16
	v_mul_f16_e32 v16, 0x3b00, v3
	s_delay_alu instid0(VALU_DEP_4)
	v_add_f16_e32 v1, v1, v12
	v_add_f16_e32 v5, v5, v12
	v_add_f16_e32 v11, v11, v12
	v_fma_f16 v3, v3, 0xbb00, -v13
	v_fmac_f16_e32 v16, 0x3574, v7
	v_fmamk_f16 v7, v7, 0xb574, v13
	v_mul_f16_e32 v13, 0x2b26, v8
	v_fmamk_f16 v8, v8, 0x2b26, v4
	v_fma_f16 v4, v14, 0xb9e0, -v4
	v_fmac_f16_e32 v3, 0xb70e, v0
	v_fmac_f16_e32 v7, 0xb70e, v0
	v_fma_f16 v13, v14, 0x39e0, -v13
	v_mul_f16_e32 v14, 0x3846, v15
	v_mul_f16_e32 v15, 0x3b00, v6
	v_add_f16_e32 v4, v4, v9
	v_add_f16_e32 v8, v8, v9
	;; [unrolled: 1-line block ×3, first 2 shown]
	v_fma_f16 v6, v6, 0xbb00, -v14
	v_fmac_f16_e32 v15, 0x3574, v10
	v_fmamk_f16 v10, v10, 0xb574, v14
	v_sub_f16_e32 v12, v11, v3
	v_add_f16_e32 v3, v3, v11
	v_fmac_f16_e32 v6, 0xb70e, v2
	v_fmac_f16_e32 v16, 0xb70e, v0
	;; [unrolled: 1-line block ×4, first 2 shown]
	s_delay_alu instid0(VALU_DEP_4) | instskip(SKIP_1) | instid1(VALU_DEP_3)
	v_sub_f16_e32 v11, v9, v6
	v_add_f16_e32 v6, v6, v9
	v_add_f16_e32 v9, v15, v4
	s_delay_alu instid0(VALU_DEP_3) | instskip(NEXT) | instid1(VALU_DEP_3)
	v_pack_b32_f16 v0, v3, v11
	v_pack_b32_f16 v2, v12, v6
	v_sub_f16_e32 v3, v5, v7
	v_add_f16_e32 v6, v10, v8
	v_lshrrev_b32_e32 v11, 16, v130
	s_delay_alu instid0(VALU_DEP_2) | instskip(SKIP_1) | instid1(VALU_DEP_1)
	v_pack_b32_f16 v3, v3, v6
	v_sub_f16_e32 v6, v1, v16
	v_pack_b32_f16 v6, v6, v9
	ds_store_2addr_b32 v206, v2, v0 offset0:3 offset1:4
	ds_store_2addr_b32 v206, v6, v3 offset0:5 offset1:6
	v_add_f16_e32 v0, v16, v1
	v_sub_f16_e32 v1, v4, v15
	v_add_f16_e32 v2, v5, v7
	v_sub_f16_e32 v3, v8, v10
	v_lshrrev_b32_e32 v7, 16, v128
	v_add_f16_e64 v5, v143, v128
	v_pack_b32_f16 v0, v0, v1
	v_add_f16_e64 v9, v130, v141
	v_pack_b32_f16 v1, v2, v3
	v_or_b32_e32 v2, v18, v17
	ds_store_2addr_b32 v206, v1, v0 offset0:1 offset1:2
	ds_store_b32 v206, v2
	v_lshrrev_b32_e32 v0, 16, v145
	v_lshrrev_b32_e32 v3, 16, v126
	v_add_f16_e64 v1, v126, v145
	v_sub_f16_e64 v6, v143, v128
	v_sub_f16_e64 v10, v141, v130
	v_sub_f16_e64 v2, v126, v145
	v_add_f16_e32 v4, v3, v0
	v_sub_f16_e32 v0, v3, v0
	v_lshrrev_b32_e32 v3, 16, v143
	v_sub_f16_e32 v13, v5, v1
	v_sub_f16_e32 v15, v10, v6
	s_delay_alu instid0(VALU_DEP_3) | instskip(SKIP_2) | instid1(VALU_DEP_3)
	v_add_f16_e32 v8, v3, v7
	v_sub_f16_e32 v3, v3, v7
	v_lshrrev_b32_e32 v7, 16, v141
	v_sub_f16_e32 v14, v8, v4
	s_delay_alu instid0(VALU_DEP_2) | instskip(SKIP_4) | instid1(VALU_DEP_4)
	v_add_f16_e32 v12, v11, v7
	v_sub_f16_e32 v7, v7, v11
	v_add_f16_e32 v11, v5, v1
	v_sub_f16_e32 v1, v1, v9
	v_sub_f16_e32 v5, v9, v5
	v_add_f16_e32 v17, v7, v3
	s_delay_alu instid0(VALU_DEP_4)
	v_add_f16_e32 v9, v9, v11
	v_add_f16_e32 v11, v8, v4
	v_sub_f16_e32 v4, v4, v12
	v_sub_f16_e32 v8, v12, v8
	;; [unrolled: 1-line block ×3, first 2 shown]
	v_add_f16_e64 v16, v9, v138
	v_add_f16_e32 v11, v12, v11
	v_add_f16_e32 v12, v10, v6
	v_sub_f16_e32 v10, v2, v10
	v_sub_f16_e32 v6, v6, v2
	;; [unrolled: 1-line block ×4, first 2 shown]
	v_add_f16_e32 v2, v12, v2
	v_lshrrev_b32_e32 v12, 16, v138
	v_add_f16_e32 v0, v17, v0
	v_and_b32_e32 v17, 0xffff, v16
	v_fmac_f16_e32 v16, 0xbcab, v9
	v_mul_f16_e32 v1, 0x3a52, v1
	v_add_f16_e32 v9, v11, v12
	v_mul_f16_e32 v4, 0x3a52, v4
	s_delay_alu instid0(VALU_DEP_2) | instskip(SKIP_4) | instid1(VALU_DEP_3)
	v_lshlrev_b32_e32 v12, 16, v9
	v_fmac_f16_e32 v9, 0xbcab, v11
	v_mul_f16_e32 v11, 0x2b26, v5
	v_fmamk_f16 v5, v5, 0x2b26, v1
	v_fma_f16 v1, v13, 0xb9e0, -v1
	v_fma_f16 v11, v13, 0x39e0, -v11
	v_mul_f16_e32 v13, 0x3846, v18
	v_mul_f16_e32 v18, 0x3b00, v3
	v_add_f16_e32 v5, v5, v16
	v_add_f16_e32 v1, v1, v16
	;; [unrolled: 1-line block ×3, first 2 shown]
	v_fma_f16 v3, v3, 0xbb00, -v13
	v_fmac_f16_e32 v18, 0x3574, v7
	v_fmamk_f16 v7, v7, 0xb574, v13
	v_mul_f16_e32 v13, 0x2b26, v8
	v_fmamk_f16 v8, v8, 0x2b26, v4
	v_fma_f16 v4, v14, 0xb9e0, -v4
	v_fmac_f16_e32 v3, 0xb70e, v0
	v_fmac_f16_e32 v7, 0xb70e, v0
	v_fma_f16 v13, v14, 0x39e0, -v13
	v_mul_f16_e32 v14, 0x3846, v15
	v_mul_f16_e32 v15, 0x3b00, v6
	v_add_f16_e32 v4, v4, v9
	v_add_f16_e32 v8, v8, v9
	;; [unrolled: 1-line block ×3, first 2 shown]
	v_fma_f16 v6, v6, 0xbb00, -v14
	v_fmac_f16_e32 v15, 0x3574, v10
	v_fmamk_f16 v10, v10, 0xb574, v14
	v_sub_f16_e32 v13, v11, v3
	v_add_f16_e32 v3, v3, v11
	v_fmac_f16_e32 v6, 0xb70e, v2
	v_fmac_f16_e32 v18, 0xb70e, v0
	;; [unrolled: 1-line block ×4, first 2 shown]
	s_delay_alu instid0(VALU_DEP_4) | instskip(SKIP_1) | instid1(VALU_DEP_3)
	v_sub_f16_e32 v11, v9, v6
	v_add_f16_e32 v6, v6, v9
	v_add_f16_e32 v9, v15, v4
	s_delay_alu instid0(VALU_DEP_3) | instskip(NEXT) | instid1(VALU_DEP_3)
	v_pack_b32_f16 v0, v3, v11
	v_pack_b32_f16 v2, v13, v6
	v_sub_f16_e32 v3, v5, v7
	v_add_f16_e32 v6, v10, v8
	v_lshrrev_b32_e32 v11, 16, v122
	s_delay_alu instid0(VALU_DEP_2) | instskip(SKIP_1) | instid1(VALU_DEP_1)
	v_pack_b32_f16 v3, v3, v6
	v_sub_f16_e32 v6, v1, v18
	v_pack_b32_f16 v6, v6, v9
	ds_store_2addr_b32 v201, v2, v0 offset0:3 offset1:4
	ds_store_2addr_b32 v201, v6, v3 offset0:5 offset1:6
	v_add_f16_e32 v0, v18, v1
	v_sub_f16_e32 v1, v4, v15
	v_add_f16_e32 v2, v5, v7
	v_sub_f16_e32 v3, v8, v10
	v_lshrrev_b32_e32 v4, 16, v125
	v_add_f16_e64 v5, v125, v129
	v_pack_b32_f16 v0, v0, v1
	v_lshrrev_b32_e32 v7, 16, v129
	v_pack_b32_f16 v1, v2, v3
	v_or_b32_e32 v2, v12, v17
	ds_store_2addr_b32 v201, v1, v0 offset0:1 offset1:2
	ds_store_b32 v201, v2
	v_lshrrev_b32_e32 v0, 16, v131
	v_lshrrev_b32_e32 v3, 16, v123
	;; [unrolled: 1-line block ×3, first 2 shown]
	v_add_f16_e32 v9, v127, v122
	v_add_f16_e64 v1, v131, v123
	v_sub_f16_e64 v2, v123, v131
	v_sub_f16_e64 v6, v125, v129
	v_add_f16_e32 v12, v8, v11
	v_sub_f16_e32 v8, v8, v11
	v_add_f16_e32 v11, v4, v7
	v_sub_f16_e32 v4, v4, v7
	;; [unrolled: 2-line block ×4, first 2 shown]
	v_sub_f16_e32 v9, v9, v1
	v_sub_f16_e32 v5, v1, v5
	;; [unrolled: 1-line block ×3, first 2 shown]
	v_add_f16_e32 v1, v1, v3
	v_add_f16_e32 v3, v11, v12
	v_sub_f16_e32 v14, v11, v12
	v_sub_f16_e32 v12, v12, v7
	;; [unrolled: 1-line block ×4, first 2 shown]
	v_add_f16_e32 v3, v7, v3
	v_add_f16_e32 v7, v2, v6
	v_sub_f16_e32 v2, v10, v2
	v_sub_f16_e32 v6, v6, v10
	v_add_f16_e32 v16, v1, v121
	v_add_f16_e32 v17, v0, v4
	;; [unrolled: 1-line block ×3, first 2 shown]
	v_lshrrev_b32_e32 v10, 16, v121
	v_sub_f16_e32 v18, v0, v4
	v_sub_f16_e32 v0, v8, v0
	;; [unrolled: 1-line block ×3, first 2 shown]
	v_add_f16_e32 v8, v17, v8
	v_and_b32_e32 v17, 0xffff, v16
	v_fmac_f16_e32 v16, 0xbcab, v1
	v_add_f16_e32 v1, v3, v10
	v_mul_f16_e32 v12, 0x3a52, v12
	s_delay_alu instid0(VALU_DEP_2) | instskip(SKIP_3) | instid1(VALU_DEP_2)
	v_lshlrev_b32_e32 v10, 16, v1
	v_fmac_f16_e32 v1, 0xbcab, v3
	v_mul_f16_e32 v3, 0x3a52, v9
	v_mul_f16_e32 v9, 0x2b26, v5
	v_fmamk_f16 v5, v5, 0x2b26, v3
	v_fma_f16 v3, v13, 0xb9e0, -v3
	s_delay_alu instid0(VALU_DEP_3)
	v_fma_f16 v9, v13, 0x39e0, -v9
	v_mul_f16_e32 v13, 0x3846, v18
	v_mul_f16_e32 v18, 0x3b00, v4
	v_add_f16_e32 v5, v5, v16
	v_add_f16_e32 v3, v3, v16
	;; [unrolled: 1-line block ×3, first 2 shown]
	v_fma_f16 v4, v4, 0xbb00, -v13
	v_fmac_f16_e32 v18, 0x3574, v0
	v_fmamk_f16 v0, v0, 0xb574, v13
	v_mul_f16_e32 v13, 0x2b26, v11
	v_fmamk_f16 v11, v11, 0x2b26, v12
	v_fma_f16 v12, v14, 0xb9e0, -v12
	v_fmac_f16_e32 v4, 0xb70e, v8
	v_fmac_f16_e32 v0, 0xb70e, v8
	v_fma_f16 v13, v14, 0x39e0, -v13
	v_mul_f16_e32 v14, 0x3846, v15
	v_mul_f16_e32 v15, 0x3b00, v6
	v_add_f16_e32 v12, v12, v1
	v_add_f16_e32 v11, v11, v1
	;; [unrolled: 1-line block ×3, first 2 shown]
	v_fma_f16 v6, v6, 0xbb00, -v14
	v_fmac_f16_e32 v15, 0x3574, v2
	v_fmamk_f16 v2, v2, 0xb574, v14
	v_sub_f16_e32 v13, v9, v4
	v_add_f16_e32 v4, v4, v9
	v_fmac_f16_e32 v6, 0xb70e, v7
	v_fmac_f16_e32 v18, 0xb70e, v8
	v_fmac_f16_e32 v2, 0xb70e, v7
	v_fmac_f16_e32 v15, 0xb70e, v7
	v_lshrrev_b32_e32 v14, 16, v238
	v_sub_f16_e32 v9, v1, v6
	v_add_f16_e32 v1, v6, v1
	v_sub_f16_e32 v6, v5, v0
	v_add_f16_e32 v7, v2, v11
	v_add_f16_e32 v8, v15, v12
	v_pack_b32_f16 v4, v4, v9
	v_pack_b32_f16 v1, v13, v1
	v_add_f16_e32 v0, v5, v0
	v_pack_b32_f16 v6, v6, v7
	v_sub_f16_e32 v7, v3, v18
	v_sub_f16_e32 v2, v11, v2
	s_delay_alu instid0(VALU_DEP_2)
	v_pack_b32_f16 v7, v7, v8
	ds_store_2addr_b32 v198, v1, v4 offset0:3 offset1:4
	ds_store_2addr_b32 v198, v7, v6 offset0:5 offset1:6
	v_add_f16_e32 v1, v18, v3
	v_sub_f16_e32 v3, v12, v15
	v_pack_b32_f16 v0, v0, v2
	v_or_b32_e32 v2, v10, v17
	v_lshrrev_b32_e32 v4, 16, v236
	v_lshrrev_b32_e32 v6, 16, v237
	v_pack_b32_f16 v1, v1, v3
	ds_store_2addr_b32 v198, v0, v1 offset0:1 offset1:2
	ds_store_b32 v198, v2
	global_wb scope:SCOPE_SE
	s_wait_dscnt 0x0
	s_barrier_signal -1
	s_barrier_wait -1
	global_inv scope:SCOPE_SE
	ds_load_2addr_b32 v[121:122], v252 offset0:38 offset1:87
	v_lshrrev_b32_e32 v2, 16, v235
	v_lshrrev_b32_e32 v17, 16, v36
	s_wait_dscnt 0x0
	v_lshrrev_b32_e32 v0, 16, v122
	s_delay_alu instid0(VALU_DEP_3) | instskip(NEXT) | instid1(VALU_DEP_2)
	v_mul_f16_e32 v1, v2, v122
	v_mul_f16_e32 v7, v2, v0
	s_delay_alu instid0(VALU_DEP_2)
	v_fma_f16 v8, v235, v0, -v1
	ds_load_2addr_b32 v[0:1], v181 offset0:174 offset1:223
	v_fmac_f16_e64 v7, v235, v122
	s_wait_dscnt 0x0
	v_lshrrev_b32_e32 v2, 16, v0
	v_mul_f16_e32 v3, v4, v0
	s_delay_alu instid0(VALU_DEP_2)
	v_mul_f16_e32 v9, v4, v2
	ds_load_2addr_b32 v[4:5], v170 offset0:84 offset1:133
	v_fma_f16 v10, v236, v2, -v3
	v_fmac_f16_e64 v9, v236, v0
	v_lshrrev_b32_e32 v0, 16, v37
	s_wait_dscnt 0x0
	v_lshrrev_b32_e32 v2, 16, v5
	v_mul_f16_e32 v3, v6, v5
	s_delay_alu instid0(VALU_DEP_2) | instskip(NEXT) | instid1(VALU_DEP_2)
	v_mul_f16_e32 v11, v6, v2
	v_fma_f16 v12, v237, v2, -v3
	ds_load_2addr_b32 v[2:3], v223 offset0:92 offset1:141
	v_fmac_f16_e64 v11, v237, v5
	v_mul_f16_e32 v5, v0, v1
	s_wait_dscnt 0x0
	v_lshrrev_b32_e32 v6, 16, v2
	v_mul_f16_e32 v13, v14, v2
	s_delay_alu instid0(VALU_DEP_2) | instskip(NEXT) | instid1(VALU_DEP_2)
	v_mul_f16_e32 v14, v14, v6
	v_fma_f16 v13, v238, v6, -v13
	v_lshrrev_b32_e32 v6, 16, v3
	s_delay_alu instid0(VALU_DEP_3) | instskip(SKIP_1) | instid1(VALU_DEP_1)
	v_fmac_f16_e64 v14, v238, v2
	v_lshrrev_b32_e32 v2, 16, v1
	v_mul_f16_e64 v140, v0, v2
	v_lshrrev_b32_e32 v0, 16, v39
	v_fma_f16 v142, v37, v2, -v5
	s_delay_alu instid0(VALU_DEP_3) | instskip(NEXT) | instid1(VALU_DEP_3)
	v_fmac_f16_e64 v140, v37, v1
	v_mul_f16_e64 v141, v0, v6
	v_mul_f16_e32 v15, v0, v3
	ds_load_2addr_b32 v[0:1], v252 offset0:136 offset1:185
	v_fmac_f16_e64 v141, v39, v3
	v_fma_f16 v145, v39, v6, -v15
	v_lshrrev_b32_e32 v15, 16, v33
	s_wait_dscnt 0x0
	v_lshrrev_b32_e32 v3, 16, v0
	v_mul_f16_e32 v16, v17, v0
	s_delay_alu instid0(VALU_DEP_2) | instskip(NEXT) | instid1(VALU_DEP_2)
	v_mul_f16_e64 v147, v17, v3
	v_fma_f16 v146, v36, v3, -v16
	ds_load_2addr_b32 v[2:3], v208 offset0:54 offset1:103
	v_lshrrev_b32_e32 v17, 16, v38
	v_fmac_f16_e64 v147, v36, v0
	v_lshrrev_b32_e32 v0, 16, v1
	s_wait_dscnt 0x0
	v_lshrrev_b32_e32 v5, 16, v2
	v_mul_f16_e32 v16, v17, v2
	s_delay_alu instid0(VALU_DEP_2) | instskip(NEXT) | instid1(VALU_DEP_2)
	v_mul_f16_e64 v144, v17, v5
	v_fma_f16 v143, v38, v5, -v16
	v_lshrrev_b32_e32 v5, 16, v34
	v_lshrrev_b32_e32 v17, 16, v28
	s_delay_alu instid0(VALU_DEP_4) | instskip(SKIP_2) | instid1(VALU_DEP_2)
	v_fmac_f16_e64 v144, v38, v2
	v_lshrrev_b32_e32 v2, 16, v32
	v_sub_f16_e64 v84, v145, v143
	v_mul_f16_e64 v132, v2, v0
	s_delay_alu instid0(VALU_DEP_1) | instskip(SKIP_2) | instid1(VALU_DEP_2)
	v_fmac_f16_e64 v132, v32, v1
	v_mul_f16_e32 v1, v2, v1
	v_lshrrev_b32_e32 v2, 16, v3
	v_fma_f16 v135, v32, v0, -v1
	s_delay_alu instid0(VALU_DEP_2) | instskip(SKIP_3) | instid1(VALU_DEP_1)
	v_mul_f16_e64 v133, v5, v2
	ds_load_2addr_b32 v[0:1], v195 offset0:16 offset1:65
	v_fmac_f16_e64 v133, v34, v3
	v_mul_f16_e32 v3, v5, v3
	v_fma_f16 v134, v34, v2, -v3
	ds_load_2addr_b32 v[2:3], v223 offset0:190 offset1:239
	s_wait_dscnt 0x1
	v_lshrrev_b32_e32 v5, 16, v0
	v_mul_f16_e32 v6, v15, v0
	s_delay_alu instid0(VALU_DEP_2) | instskip(NEXT) | instid1(VALU_DEP_2)
	v_mul_f16_e64 v137, v15, v5
	v_fma_f16 v136, v33, v5, -v6
	v_lshrrev_b32_e32 v15, 16, v35
	s_delay_alu instid0(VALU_DEP_3) | instskip(SKIP_2) | instid1(VALU_DEP_3)
	v_fmac_f16_e64 v137, v33, v0
	s_wait_dscnt 0x0
	v_lshrrev_b32_e32 v5, 16, v2
	v_mul_f16_e32 v6, v15, v2
	v_lshrrev_b32_e32 v0, 16, v29
	s_delay_alu instid0(VALU_DEP_3) | instskip(NEXT) | instid1(VALU_DEP_3)
	v_mul_f16_e64 v139, v15, v5
	v_fma_f16 v138, v35, v5, -v6
	s_delay_alu instid0(VALU_DEP_3) | instskip(SKIP_1) | instid1(VALU_DEP_4)
	v_mul_f16_e32 v5, v0, v1
	v_lshrrev_b32_e32 v6, 16, v3
	v_fmac_f16_e64 v139, v35, v2
	v_lshrrev_b32_e32 v2, 16, v1
	v_lshrrev_b32_e32 v35, 16, v99
	s_delay_alu instid0(VALU_DEP_2) | instskip(SKIP_2) | instid1(VALU_DEP_3)
	v_mul_f16_e32 v124, v0, v2
	v_lshrrev_b32_e32 v0, 16, v31
	v_fma_f16 v126, v29, v2, -v5
	v_fmac_f16_e32 v124, v29, v1
	s_delay_alu instid0(VALU_DEP_3)
	v_mul_f16_e32 v125, v0, v6
	v_mul_f16_e32 v15, v0, v3
	ds_load_2addr_b32 v[0:1], v217 offset0:106 offset1:155
	v_fmac_f16_e32 v125, v31, v3
	v_fma_f16 v129, v31, v6, -v15
	v_lshrrev_b32_e32 v15, 16, v25
	s_wait_dscnt 0x0
	v_lshrrev_b32_e32 v3, 16, v0
	v_mul_f16_e32 v16, v17, v0
	s_delay_alu instid0(VALU_DEP_2) | instskip(NEXT) | instid1(VALU_DEP_2)
	v_mul_f16_e64 v131, v17, v3
	v_fma_f16 v130, v28, v3, -v16
	ds_load_2addr_b32 v[2:3], v208 offset0:152 offset1:201
	v_lshrrev_b32_e32 v17, 16, v30
	v_fmac_f16_e64 v131, v28, v0
	v_lshrrev_b32_e32 v0, 16, v1
	s_wait_dscnt 0x0
	v_lshrrev_b32_e32 v5, 16, v2
	v_mul_f16_e32 v16, v17, v2
	s_delay_alu instid0(VALU_DEP_2) | instskip(NEXT) | instid1(VALU_DEP_2)
	v_mul_f16_e64 v128, v17, v5
	v_fma_f16 v127, v30, v5, -v16
	v_lshrrev_b32_e32 v5, 16, v26
	v_lshrrev_b32_e32 v17, 16, v95
	s_delay_alu instid0(VALU_DEP_4) | instskip(SKIP_1) | instid1(VALU_DEP_1)
	v_fmac_f16_e64 v128, v30, v2
	v_lshrrev_b32_e32 v2, 16, v24
	v_mul_f16_e32 v32, v2, v0
	s_delay_alu instid0(VALU_DEP_1) | instskip(SKIP_2) | instid1(VALU_DEP_2)
	v_fmac_f16_e32 v32, v24, v1
	v_mul_f16_e32 v1, v2, v1
	v_lshrrev_b32_e32 v2, 16, v3
	v_fma_f16 v37, v24, v0, -v1
	s_delay_alu instid0(VALU_DEP_2) | instskip(SKIP_3) | instid1(VALU_DEP_1)
	v_mul_f16_e32 v33, v5, v2
	ds_load_2addr_b32 v[0:1], v195 offset0:114 offset1:163
	v_fmac_f16_e32 v33, v26, v3
	v_mul_f16_e32 v3, v5, v3
	v_fma_f16 v36, v26, v2, -v3
	ds_load_2addr_b32 v[2:3], v194 offset0:32 offset1:81
	s_wait_dscnt 0x1
	v_lshrrev_b32_e32 v5, 16, v0
	v_mul_f16_e32 v6, v15, v0
	s_delay_alu instid0(VALU_DEP_2) | instskip(NEXT) | instid1(VALU_DEP_2)
	v_mul_f16_e32 v39, v15, v5
	v_fma_f16 v38, v25, v5, -v6
	v_lshrrev_b32_e32 v15, 16, v27
	s_delay_alu instid0(VALU_DEP_3) | instskip(SKIP_2) | instid1(VALU_DEP_3)
	v_fmac_f16_e32 v39, v25, v0
	s_wait_dscnt 0x0
	v_lshrrev_b32_e32 v5, 16, v2
	v_mul_f16_e32 v6, v15, v2
	v_lshrrev_b32_e32 v0, 16, v96
	s_delay_alu instid0(VALU_DEP_3) | instskip(NEXT) | instid1(VALU_DEP_3)
	v_mul_f16_e32 v123, v15, v5
	v_fma_f16 v122, v27, v5, -v6
	s_delay_alu instid0(VALU_DEP_3) | instskip(SKIP_1) | instid1(VALU_DEP_4)
	v_mul_f16_e32 v5, v0, v1
	v_lshrrev_b32_e32 v15, 16, v3
	v_fmac_f16_e32 v123, v27, v2
	v_lshrrev_b32_e32 v2, 16, v1
	s_delay_alu instid0(VALU_DEP_1) | instskip(SKIP_2) | instid1(VALU_DEP_3)
	v_mul_f16_e32 v24, v0, v2
	v_lshrrev_b32_e32 v0, 16, v98
	v_fma_f16 v26, v96, v2, -v5
	v_fmac_f16_e32 v24, v96, v1
	s_delay_alu instid0(VALU_DEP_3) | instskip(NEXT) | instid1(VALU_DEP_1)
	v_mul_f16_e32 v25, v0, v15
	v_fmac_f16_e32 v25, v98, v3
	v_mul_f16_e32 v3, v0, v3
	ds_load_2addr_b32 v[0:1], v181 offset0:76 offset1:125
	v_fma_f16 v23, v98, v15, -v3
	s_wait_dscnt 0x0
	v_lshrrev_b32_e32 v6, 16, v0
	v_mul_f16_e32 v16, v17, v0
	s_delay_alu instid0(VALU_DEP_2) | instskip(NEXT) | instid1(VALU_DEP_2)
	v_mul_f16_e32 v30, v17, v6
	v_fma_f16 v29, v95, v6, -v16
	ds_load_2addr_b32 v[5:6], v155 offset0:122 offset1:171
	v_lshrrev_b32_e32 v17, 16, v97
	v_fmac_f16_e32 v30, v95, v0
	v_lshrrev_b32_e32 v0, 16, v1
	s_wait_dscnt 0x0
	v_lshrrev_b32_e32 v2, 16, v5
	v_mul_f16_e32 v16, v17, v5
	v_lshrrev_b32_e32 v15, 16, v6
	s_delay_alu instid0(VALU_DEP_3) | instskip(NEXT) | instid1(VALU_DEP_3)
	v_mul_f16_e32 v28, v17, v2
	v_fma_f16 v27, v97, v2, -v16
	v_mul_f16_e64 v2, v225, v0
	s_delay_alu instid0(VALU_DEP_4)
	v_mul_f16_e64 v20, v243, v15
	v_mul_f16_e64 v16, v243, v6
	v_fmac_f16_e32 v28, v97, v5
	v_lshrrev_b32_e32 v5, 16, v4
	v_fmac_f16_e32 v2, v89, v1
	v_mul_f16_e64 v1, v225, v1
	v_fmac_f16_e32 v20, v91, v6
	v_lshrrev_b32_e32 v6, 16, v92
	v_mul_f16_e64 v3, v227, v5
	v_fma_f16 v16, v91, v15, -v16
	v_fma_f16 v21, v89, v0, -v1
	ds_load_2addr_b32 v[0:1], v194 offset0:130 offset1:179
	v_fmac_f16_e32 v3, v90, v4
	v_mul_f16_e64 v4, v227, v4
	s_delay_alu instid0(VALU_DEP_1) | instskip(SKIP_3) | instid1(VALU_DEP_2)
	v_fma_f16 v17, v90, v5, -v4
	s_wait_dscnt 0x0
	v_lshrrev_b32_e32 v4, 16, v0
	v_mul_f16_e32 v5, v6, v0
	v_mul_f16_e32 v22, v6, v4
	s_delay_alu instid0(VALU_DEP_2) | instskip(SKIP_1) | instid1(VALU_DEP_3)
	v_fma_f16 v18, v92, v4, -v5
	v_lshrrev_b32_e32 v5, 16, v232
	v_fmac_f16_e32 v22, v92, v0
	v_lshrrev_b32_e32 v0, 16, v1
	s_delay_alu instid0(VALU_DEP_1) | instskip(SKIP_1) | instid1(VALU_DEP_2)
	v_mul_f16_e32 v4, v5, v0
	v_mul_f16_e32 v5, v5, v1
	v_fmac_f16_e64 v4, v232, v1
	s_delay_alu instid0(VALU_DEP_2)
	v_fma_f16 v5, v232, v0, -v5
	ds_load_2addr_b32 v[0:1], v187 offset0:10 offset1:59
	v_add_f16_e32 v91, v9, v4
	v_sub_f16_e32 v94, v9, v4
	v_add_f16_e64 v227, v10, v5
	v_add_f16_e32 v4, v11, v14
	v_sub_f16_e64 v225, v10, v5
	v_sub_f16_e32 v5, v14, v11
	s_delay_alu instid0(VALU_DEP_3) | instskip(NEXT) | instid1(VALU_DEP_1)
	v_sub_f16_e64 v237, v4, v91
	v_mul_f16_e64 v14, 0x2b26, v237
	s_wait_dscnt 0x0
	v_lshrrev_b32_e32 v6, 16, v0
	v_mul_f16_e32 v15, v19, v0
	s_delay_alu instid0(VALU_DEP_2) | instskip(NEXT) | instid1(VALU_DEP_2)
	v_mul_f16_e32 v83, v19, v6
	v_fma_f16 v6, v233, v6, -v15
	v_lshrrev_b32_e32 v15, 16, v1
	s_delay_alu instid0(VALU_DEP_3) | instskip(SKIP_1) | instid1(VALU_DEP_4)
	v_fmac_f16_e64 v83, v233, v0
	v_lshrrev_b32_e32 v0, 16, v100
	v_add_f16_e32 v90, v8, v6
	v_sub_f16_e32 v89, v8, v6
	v_add_f16_e32 v6, v12, v13
	v_add_f16_e32 v80, v7, v83
	v_mul_f16_e64 v198, v0, v15
	v_mul_f16_e32 v19, v0, v1
	v_sub_f16_e32 v85, v7, v83
	v_sub_f16_e32 v7, v13, v12
	;; [unrolled: 1-line block ×3, first 2 shown]
	v_fmac_f16_e64 v198, v100, v1
	ds_load_2addr_b32 v[0:1], v246 offset0:100 offset1:149
	v_fma_f16 v218, v100, v15, -v19
	v_lshrrev_b32_e32 v15, 16, v160
	v_sub_f16_e64 v13, v7, v225
	v_sub_f16_e64 v236, v6, v227
	;; [unrolled: 1-line block ×4, first 2 shown]
	s_delay_alu instid0(VALU_DEP_4) | instskip(SKIP_1) | instid1(VALU_DEP_2)
	v_mul_f16_e64 v238, 0x3846, v13
	v_sub_f16_e64 v13, v225, v89
	v_fma_f16 v235, 0xb574, v233, v238
	s_delay_alu instid0(VALU_DEP_2) | instskip(SKIP_4) | instid1(VALU_DEP_3)
	v_fma_f16 v83, v13, 0xbb00, -v238
	v_mul_f16_e32 v13, 0x3b00, v13
	s_wait_dscnt 0x0
	v_lshrrev_b32_e32 v31, 16, v0
	v_mul_f16_e32 v34, v35, v0
	v_fmac_f16_e64 v13, 0x3574, v233
	s_delay_alu instid0(VALU_DEP_3) | instskip(NEXT) | instid1(VALU_DEP_3)
	v_mul_f16_e64 v206, v35, v31
	v_fma_f16 v201, v99, v31, -v34
	v_lshrrev_b32_e32 v31, 16, v161
	v_lshrrev_b32_e32 v35, 16, v153
	s_delay_alu instid0(VALU_DEP_4) | instskip(SKIP_1) | instid1(VALU_DEP_1)
	v_fmac_f16_e64 v206, v99, v0
	v_lshrrev_b32_e32 v0, 16, v1
	v_mul_f16_e64 v150, v15, v0
	v_mul_f16_e32 v15, v15, v1
	s_delay_alu instid0(VALU_DEP_2) | instskip(NEXT) | instid1(VALU_DEP_2)
	v_fmac_f16_e64 v150, v160, v1
	v_fma_f16 v151, v160, v0, -v15
	ds_load_2addr_b32 v[0:1], v187 offset0:108 offset1:157
	s_wait_dscnt 0x0
	v_lshrrev_b32_e32 v15, 16, v0
	v_mul_f16_e32 v19, v31, v0
	s_delay_alu instid0(VALU_DEP_2) | instskip(NEXT) | instid1(VALU_DEP_2)
	v_mul_f16_e64 v190, v31, v15
	v_fma_f16 v164, v161, v15, -v19
	v_lshrrev_b32_e32 v15, 16, v1
	s_delay_alu instid0(VALU_DEP_3) | instskip(SKIP_2) | instid1(VALU_DEP_2)
	v_fmac_f16_e64 v190, v161, v0
	v_lshrrev_b32_e32 v0, 16, v154
	v_mov_b32_e32 v161, v155
	v_mul_f16_e32 v99, v0, v15
	v_mul_f16_e32 v19, v0, v1
	s_delay_alu instid0(VALU_DEP_2)
	v_fmac_f16_e64 v99, v154, v1
	ds_load_2addr_b32 v[0:1], v169 offset0:70 offset1:119
	v_fma_f16 v149, v154, v15, -v19
	v_lshrrev_b32_e32 v15, 16, v156
	s_wait_dscnt 0x0
	v_lshrrev_b32_e32 v31, 16, v0
	v_mul_f16_e32 v34, v35, v0
	s_delay_alu instid0(VALU_DEP_2) | instskip(NEXT) | instid1(VALU_DEP_2)
	v_mul_f16_e64 v148, v35, v31
	v_fma_f16 v100, v153, v31, -v34
	v_lshrrev_b32_e32 v31, 16, v157
	v_lshrrev_b32_e32 v35, 16, v158
	s_delay_alu instid0(VALU_DEP_4) | instskip(SKIP_1) | instid1(VALU_DEP_1)
	v_fmac_f16_e64 v148, v153, v0
	v_lshrrev_b32_e32 v0, 16, v1
	v_mul_f16_e32 v95, v15, v0
	v_mul_f16_e32 v15, v15, v1
	s_delay_alu instid0(VALU_DEP_2) | instskip(NEXT) | instid1(VALU_DEP_2)
	v_fmac_f16_e64 v95, v156, v1
	v_fma_f16 v96, v156, v0, -v15
	ds_load_2addr_b32 v[0:1], v187 offset0:206 offset1:255
	s_wait_dscnt 0x0
	v_lshrrev_b32_e32 v15, 16, v0
	v_mul_f16_e32 v19, v31, v0
	s_delay_alu instid0(VALU_DEP_2) | instskip(NEXT) | instid1(VALU_DEP_2)
	v_mul_f16_e32 v98, v31, v15
	v_fma_f16 v97, v157, v15, -v19
	v_lshrrev_b32_e32 v15, 16, v1
	s_delay_alu instid0(VALU_DEP_3) | instskip(SKIP_1) | instid1(VALU_DEP_1)
	v_fmac_f16_e64 v98, v157, v0
	v_lshrrev_b32_e32 v0, 16, v159
	v_mul_f16_e32 v81, v0, v15
	v_mul_f16_e32 v19, v0, v1
	s_delay_alu instid0(VALU_DEP_2)
	v_fmac_f16_e64 v81, v159, v1
	ds_load_2addr_b32 v[0:1], v169 offset0:168 offset1:217
	v_fma_f16 v92, v159, v15, -v19
	v_lshrrev_b32_e32 v15, 16, v254
	s_wait_dscnt 0x0
	v_lshrrev_b32_e32 v31, 16, v0
	v_mul_f16_e32 v34, v35, v0
	s_delay_alu instid0(VALU_DEP_2) | instskip(NEXT) | instid1(VALU_DEP_2)
	v_mul_f16_e32 v93, v35, v31
	v_fma_f16 v82, v158, v31, -v34
	s_delay_alu instid0(VALU_DEP_2) | instskip(SKIP_1) | instid1(VALU_DEP_1)
	v_fmac_f16_e64 v93, v158, v0
	v_lshrrev_b32_e32 v0, 16, v1
	v_mul_f16_e32 v19, v15, v0
	v_mul_f16_e32 v15, v15, v1
	s_delay_alu instid0(VALU_DEP_2) | instskip(NEXT) | instid1(VALU_DEP_2)
	v_fmac_f16_e64 v19, v254, v1
	v_fma_f16 v31, v254, v0, -v15
	ds_load_b32 v0, v152 offset:9408
	v_lshrrev_b32_e32 v15, 16, v255
	v_mul_f16_e64 v254, 0x3846, v12
	v_sub_f16_e32 v12, v94, v85
	s_delay_alu instid0(VALU_DEP_2) | instskip(SKIP_2) | instid1(VALU_DEP_1)
	v_fma_f16 v250, 0xb574, v232, v254
	s_wait_dscnt 0x0
	v_lshrrev_b32_e32 v1, 16, v0
	v_mul_f16_e32 v34, v15, v1
	v_mul_f16_e32 v15, v15, v0
	s_delay_alu instid0(VALU_DEP_2) | instskip(SKIP_1) | instid1(VALU_DEP_3)
	v_fmac_f16_e64 v34, v255, v0
	v_add_f16_e32 v0, v91, v80
	v_fma_f16 v35, v255, v1, -v15
	v_mul_f16_e64 v15, 0x2b26, v236
	s_delay_alu instid0(VALU_DEP_3) | instskip(SKIP_1) | instid1(VALU_DEP_1)
	v_add_f16_e32 v8, v4, v0
	v_add_f16_e64 v0, v227, v90
	v_add_f16_e32 v9, v6, v0
	ds_load_2addr_b32 v[0:1], v152 offset1:49
	s_wait_dscnt 0x0
	v_lshrrev_b32_e32 v10, 16, v0
	v_add_f16_e32 v0, v8, v0
	s_delay_alu instid0(VALU_DEP_2) | instskip(NEXT) | instid1(VALU_DEP_2)
	v_add_f16_e64 v229, v9, v10
	v_and_b32_e32 v11, 0xffff, v0
	v_fmac_f16_e32 v0, 0xbcab, v8
	v_sub_f16_e32 v8, v80, v4
	v_sub_f16_e32 v4, v90, v6
	v_lshlrev_b32_e32 v10, 16, v229
	v_add_f16_e32 v6, v5, v94
	v_add_f16_e64 v5, v7, v225
	v_mul_f16_e64 v255, 0x3a52, v8
	v_mul_f16_e64 v251, 0x3a52, v4
	v_or_b32_e32 v11, v10, v11
	v_fmac_f16_e64 v229, 0xbcab, v9
	v_add_f16_e32 v9, v6, v85
	v_fma_f16 v4, 0x2b26, v237, v255
	v_add_f16_e32 v10, v5, v89
	s_delay_alu instid0(VALU_DEP_3) | instskip(NEXT) | instid1(VALU_DEP_3)
	v_fmac_f16_e64 v250, 0xb70e, v9
	v_add_f16_e32 v86, v4, v0
	v_fma_f16 v4, 0x2b26, v236, v251
	s_delay_alu instid0(VALU_DEP_4) | instskip(SKIP_2) | instid1(VALU_DEP_4)
	v_fmac_f16_e64 v235, 0xb70e, v10
	v_fmac_f16_e32 v13, 0xb70e, v10
	v_fmac_f16_e32 v83, 0xb70e, v10
	v_add_f16_e64 v87, v4, v229
	s_delay_alu instid0(VALU_DEP_4)
	v_add_f16_e64 v8, v235, v86
	ds_load_2addr_b32 v[4:5], v152 offset0:98 offset1:147
	ds_load_2addr_b32 v[6:7], v152 offset0:196 offset1:245
	global_wb scope:SCOPE_SE
	s_wait_dscnt 0x0
	s_barrier_signal -1
	v_sub_f16_e64 v243, v87, v250
	s_barrier_wait -1
	global_inv scope:SCOPE_SE
	v_pack_b32_f16 v8, v8, v243
	ds_store_2addr_b32 v210, v11, v8 offset1:7
	v_sub_f16_e32 v8, v91, v80
	v_sub_f16_e64 v11, v227, v90
	v_fma_f16 v80, v12, 0xbb00, -v254
	v_mul_f16_e32 v12, 0x3b00, v12
	s_delay_alu instid0(VALU_DEP_4)
	v_fma_f16 v14, v8, 0x39e0, -v14
	v_fma_f16 v8, v8, 0xb9e0, -v255
	;; [unrolled: 1-line block ×4, first 2 shown]
	v_fmac_f16_e64 v12, 0x3574, v232
	v_add_f16_e32 v14, v14, v0
	v_add_f16_e32 v0, v8, v0
	v_add_f16_e64 v8, v15, v229
	v_add_f16_e64 v11, v11, v229
	v_fmac_f16_e32 v12, 0xb70e, v9
	v_fmac_f16_e32 v80, 0xb70e, v9
	v_add_f16_e32 v9, v13, v0
	v_sub_f16_e32 v0, v0, v13
	v_add_f16_e64 v13, v142, v201
	v_sub_f16_e32 v10, v11, v12
	v_add_f16_e32 v15, v80, v8
	v_sub_f16_e32 v8, v8, v80
	v_sub_f16_e64 v80, v141, v144
	s_delay_alu instid0(VALU_DEP_4) | instskip(SKIP_1) | instid1(VALU_DEP_1)
	v_pack_b32_f16 v9, v9, v10
	v_sub_f16_e32 v10, v14, v83
	v_pack_b32_f16 v10, v10, v15
	v_add_f16_e64 v15, v144, v141
	ds_store_2addr_b32 v210, v9, v10 offset0:14 offset1:21
	v_add_f16_e32 v9, v83, v14
	v_add_f16_e32 v10, v12, v11
	v_add_f16_e64 v11, v140, v206
	v_add_f16_e64 v83, v143, v145
	v_sub_f16_e64 v12, v140, v206
	v_pack_b32_f16 v8, v9, v8
	v_pack_b32_f16 v0, v0, v10
	v_add_f16_e64 v9, v146, v218
	v_sub_f16_e64 v14, v142, v201
	v_sub_f16_e64 v10, v146, v218
	v_sub_f16_e32 v90, v80, v12
	ds_store_2addr_b32 v210, v8, v0 offset0:28 offset1:35
	v_sub_f16_e64 v0, v86, v235
	v_add_f16_e64 v8, v250, v87
	v_add_f16_e32 v87, v13, v9
	v_lshrrev_b32_e32 v86, 16, v1
	v_add_f16_e32 v91, v84, v14
	v_sub_f16_e32 v94, v84, v14
	v_pack_b32_f16 v0, v0, v8
	v_add_f16_e32 v87, v83, v87
	v_sub_f16_e64 v8, v147, v198
	v_sub_f16_e32 v84, v10, v84
	v_add_f16_e32 v91, v91, v10
	ds_store_b32 v210, v0 offset:168
	v_add_f16_e64 v0, v147, v198
	v_add_f16_e32 v86, v87, v86
	v_mul_f16_e32 v90, 0x3846, v90
	v_mul_f16_e32 v94, 0x3846, v94
	v_sub_f16_e32 v10, v14, v10
	v_add_f16_e32 v85, v11, v0
	v_lshlrev_b32_e32 v88, 16, v86
	v_fmac_f16_e32 v86, 0xbcab, v87
	v_sub_f16_e32 v87, v9, v83
	v_sub_f16_e32 v83, v83, v13
	v_add_f16_e32 v85, v15, v85
	v_sub_f16_e32 v9, v13, v9
	v_fma_f16 v14, v10, 0xbb00, -v94
	v_mul_f16_e32 v87, 0x3a52, v87
	v_mul_f16_e32 v10, 0x3b00, v10
	v_add_f16_e32 v1, v85, v1
	v_fma_f16 v142, 0xb574, v84, v94
	v_fmac_f16_e32 v14, 0xb70e, v91
	v_fma_f16 v141, 0x2b26, v83, v87
	v_fmac_f16_e32 v10, 0x3574, v84
	v_and_b32_e32 v89, 0xffff, v1
	v_fmac_f16_e32 v1, 0xbcab, v85
	v_sub_f16_e32 v85, v0, v15
	v_sub_f16_e32 v15, v15, v11
	;; [unrolled: 1-line block ×3, first 2 shown]
	v_or_b32_e32 v88, v88, v89
	v_add_f16_e32 v89, v80, v12
	v_sub_f16_e32 v80, v8, v80
	v_mul_f16_e32 v85, 0x3a52, v85
	v_mul_f16_e32 v11, 0x2b26, v15
	v_fmac_f16_e32 v10, 0xb70e, v91
	v_add_f16_e32 v89, v89, v8
	v_sub_f16_e32 v8, v12, v8
	v_mul_f16_e32 v12, 0x2b26, v83
	v_fma_f16 v11, v0, 0x39e0, -v11
	v_fma_f16 v0, v0, 0xb9e0, -v85
	v_fma_f16 v140, 0x2b26, v15, v85
	v_fma_f16 v13, v8, 0xbb00, -v90
	v_mul_f16_e32 v8, 0x3b00, v8
	v_fma_f16 v12, v9, 0x39e0, -v12
	v_fma_f16 v9, v9, 0xb9e0, -v87
	v_add_f16_e32 v0, v0, v1
	v_add_f16_e64 v140, v140, v1
	v_fmac_f16_e32 v8, 0x3574, v80
	v_add_f16_e32 v11, v11, v1
	v_add_f16_e32 v9, v9, v86
	;; [unrolled: 1-line block ×3, first 2 shown]
	v_fmac_f16_e32 v13, 0xb70e, v89
	v_fmac_f16_e32 v8, 0xb70e, v89
	v_add_f16_e32 v12, v10, v0
	v_fma_f16 v143, 0xb574, v80, v90
	v_sub_f16_e32 v0, v0, v10
	v_add_f16_e32 v80, v13, v1
	v_sub_f16_e32 v15, v9, v8
	v_sub_f16_e32 v1, v1, v13
	v_add_f16_e32 v8, v8, v9
	v_add_f16_e64 v141, v141, v86
	v_fmac_f16_e64 v142, 0xb70e, v91
	v_pack_b32_f16 v12, v12, v15
	v_sub_f16_e32 v15, v11, v14
	v_add_f16_e32 v11, v14, v11
	v_fmac_f16_e64 v143, 0xb70e, v89
	v_pack_b32_f16 v0, v0, v8
	v_add_f16_e64 v8, v135, v164
	v_pack_b32_f16 v15, v15, v80
	v_pack_b32_f16 v1, v11, v1
	v_add_f16_e64 v10, v137, v150
	v_add_f16_e64 v14, v133, v139
	;; [unrolled: 1-line block ×3, first 2 shown]
	ds_store_2addr_b32 v240, v12, v15 offset0:14 offset1:21
	ds_store_2addr_b32 v240, v1, v0 offset0:28 offset1:35
	v_sub_f16_e64 v0, v140, v142
	v_add_f16_e64 v1, v143, v141
	v_add_f16_e64 v12, v136, v151
	;; [unrolled: 1-line block ×3, first 2 shown]
	v_sub_f16_e64 v145, v141, v143
	v_lshrrev_b32_e32 v86, 16, v4
	v_pack_b32_f16 v0, v0, v1
	v_add_f16_e32 v85, v12, v8
	v_sub_f16_e64 v11, v137, v150
	v_pack_b32_f16 v144, v144, v145
	v_sub_f16_e64 v13, v136, v151
	ds_store_b32 v240, v0 offset:168
	v_add_f16_e64 v0, v132, v190
	v_add_f16_e32 v85, v80, v85
	ds_store_2addr_b32 v240, v88, v144 offset1:7
	v_sub_f16_e64 v15, v139, v133
	v_sub_f16_e64 v83, v138, v134
	v_add_f16_e32 v84, v10, v0
	v_add_f16_e32 v86, v85, v86
	v_sub_f16_e64 v1, v132, v190
	v_sub_f16_e64 v9, v135, v164
	v_sub_f16_e32 v89, v15, v11
	v_add_f16_e32 v84, v14, v84
	v_lshlrev_b32_e32 v87, 16, v86
	v_add_f16_e32 v90, v83, v13
	v_sub_f16_e32 v91, v83, v13
	v_fmac_f16_e32 v86, 0xbcab, v85
	v_add_f16_e32 v4, v84, v4
	v_sub_f16_e32 v85, v8, v80
	v_sub_f16_e32 v80, v80, v12
	;; [unrolled: 1-line block ×3, first 2 shown]
	v_add_f16_e32 v90, v90, v9
	v_and_b32_e32 v88, 0xffff, v4
	v_fmac_f16_e32 v4, 0xbcab, v84
	v_sub_f16_e32 v84, v0, v14
	v_sub_f16_e32 v14, v14, v10
	v_mul_f16_e32 v89, 0x3846, v89
	v_or_b32_e32 v87, v87, v88
	v_add_f16_e32 v88, v15, v11
	v_sub_f16_e32 v15, v1, v15
	v_mul_f16_e32 v91, 0x3846, v91
	v_sub_f16_e32 v9, v13, v9
	v_mul_f16_e32 v84, 0x3a52, v84
	v_add_f16_e32 v88, v88, v1
	v_sub_f16_e32 v1, v11, v1
	v_mul_f16_e32 v85, 0x3a52, v85
	v_sub_f16_e32 v0, v10, v0
	v_sub_f16_e32 v8, v12, v8
	v_mul_f16_e32 v10, 0x2b26, v14
	v_mul_f16_e32 v11, 0x2b26, v80
	v_fma_f16 v12, v1, 0xbb00, -v89
	v_mul_f16_e32 v1, 0x3b00, v1
	v_fma_f16 v13, v9, 0xbb00, -v91
	;; [unrolled: 2-line block ×3, first 2 shown]
	v_fma_f16 v0, v0, 0xb9e0, -v84
	v_fma_f16 v11, v8, 0x39e0, -v11
	;; [unrolled: 1-line block ×3, first 2 shown]
	v_fmac_f16_e32 v1, 0x3574, v15
	v_fmac_f16_e32 v9, 0x3574, v83
	v_fmamk_f16 v94, v14, 0x2b26, v84
	v_add_f16_e32 v0, v0, v4
	v_add_f16_e32 v8, v8, v86
	v_fmac_f16_e32 v1, 0xb70e, v88
	v_fmac_f16_e32 v9, 0xb70e, v90
	v_add_f16_e32 v94, v94, v4
	v_add_f16_e32 v10, v10, v4
	;; [unrolled: 1-line block ×3, first 2 shown]
	v_fmac_f16_e32 v12, 0xb70e, v88
	v_fmac_f16_e32 v13, 0xb70e, v90
	v_add_f16_e32 v11, v9, v0
	v_sub_f16_e32 v14, v8, v1
	v_fma_f16 v132, 0x2b26, v80, v85
	v_fma_f16 v133, 0xb574, v83, v91
	;; [unrolled: 1-line block ×3, first 2 shown]
	v_add_f16_e32 v15, v12, v4
	v_pack_b32_f16 v11, v11, v14
	v_sub_f16_e32 v14, v10, v13
	v_add_f16_e32 v10, v13, v10
	v_sub_f16_e32 v4, v4, v12
	v_sub_f16_e32 v0, v0, v9
	v_add_f16_e32 v1, v1, v8
	v_add_f16_e64 v132, v132, v86
	v_fmac_f16_e64 v133, 0xb70e, v90
	v_fmac_f16_e64 v134, 0xb70e, v88
	v_pack_b32_f16 v4, v10, v4
	v_pack_b32_f16 v0, v0, v1
	;; [unrolled: 1-line block ×3, first 2 shown]
	v_add_f16_e64 v9, v124, v148
	v_add_f16_e64 v1, v134, v132
	;; [unrolled: 1-line block ×3, first 2 shown]
	ds_store_2addr_b32 v174, v4, v0 offset0:28 offset1:35
	v_sub_f16_e64 v0, v94, v133
	ds_store_2addr_b32 v174, v11, v14 offset0:14 offset1:21
	v_add_f16_e64 v4, v130, v149
	v_add_f16_e32 v11, v126, v100
	v_add_f16_e64 v15, v127, v129
	v_pack_b32_f16 v0, v0, v1
	v_add_f16_e64 v135, v133, v94
	v_sub_f16_e64 v136, v132, v134
	v_add_f16_e32 v85, v11, v4
	v_lshrrev_b32_e32 v84, 16, v5
	ds_store_b32 v174, v0 offset:168
	v_add_f16_e64 v0, v131, v99
	v_pack_b32_f16 v135, v135, v136
	v_add_f16_e32 v85, v15, v85
	v_sub_f16_e64 v10, v124, v148
	v_sub_f16_e32 v12, v126, v100
	v_add_f16_e32 v83, v9, v0
	ds_store_2addr_b32 v174, v87, v135 offset1:7
	v_add_f16_e32 v84, v85, v84
	v_sub_f16_e64 v14, v125, v128
	v_sub_f16_e64 v80, v129, v127
	v_add_f16_e32 v83, v13, v83
	v_sub_f16_e64 v1, v131, v99
	v_lshlrev_b32_e32 v86, 16, v84
	v_sub_f16_e64 v8, v130, v149
	v_sub_f16_e32 v88, v14, v10
	v_add_f16_e32 v5, v83, v5
	v_add_f16_e32 v89, v80, v12
	v_sub_f16_e32 v90, v80, v12
	v_fmac_f16_e32 v84, 0xbcab, v85
	v_sub_f16_e32 v85, v4, v15
	v_and_b32_e32 v87, 0xffff, v5
	v_fmac_f16_e32 v5, 0xbcab, v83
	v_sub_f16_e32 v83, v0, v13
	v_sub_f16_e32 v13, v13, v9
	;; [unrolled: 1-line block ×3, first 2 shown]
	v_or_b32_e32 v86, v86, v87
	v_add_f16_e32 v87, v14, v10
	v_sub_f16_e32 v14, v1, v14
	v_sub_f16_e32 v80, v8, v80
	v_add_f16_e32 v89, v89, v8
	v_mul_f16_e32 v88, 0x3846, v88
	v_add_f16_e32 v87, v87, v1
	v_mul_f16_e32 v90, 0x3846, v90
	v_sub_f16_e32 v1, v10, v1
	v_sub_f16_e32 v8, v12, v8
	v_mul_f16_e32 v83, 0x3a52, v83
	v_mul_f16_e32 v85, 0x3a52, v85
	v_sub_f16_e32 v0, v9, v0
	v_sub_f16_e32 v4, v11, v4
	v_mul_f16_e32 v9, 0x2b26, v13
	v_mul_f16_e32 v10, 0x2b26, v15
	v_fma_f16 v11, v1, 0xbb00, -v88
	v_mul_f16_e32 v1, 0x3b00, v1
	v_fma_f16 v12, v8, 0xbb00, -v90
	;; [unrolled: 2-line block ×3, first 2 shown]
	v_fma_f16 v0, v0, 0xb9e0, -v83
	v_fma_f16 v10, v4, 0x39e0, -v10
	;; [unrolled: 1-line block ×3, first 2 shown]
	v_fmac_f16_e32 v1, 0x3574, v14
	v_fmac_f16_e32 v8, 0x3574, v80
	v_fmamk_f16 v91, v13, 0x2b26, v83
	v_add_f16_e32 v0, v0, v5
	v_add_f16_e32 v4, v4, v84
	v_fmac_f16_e32 v1, 0xb70e, v87
	v_fmac_f16_e32 v8, 0xb70e, v89
	v_add_f16_e32 v91, v91, v5
	v_add_f16_e32 v9, v9, v5
	;; [unrolled: 1-line block ×3, first 2 shown]
	v_fmac_f16_e32 v11, 0xb70e, v87
	v_fmac_f16_e32 v12, 0xb70e, v89
	v_add_f16_e32 v10, v8, v0
	v_sub_f16_e32 v13, v4, v1
	v_fmamk_f16 v94, v15, 0x2b26, v85
	v_fmamk_f16 v99, v80, 0xb574, v90
	;; [unrolled: 1-line block ×3, first 2 shown]
	v_add_f16_e32 v14, v11, v5
	v_pack_b32_f16 v10, v10, v13
	v_sub_f16_e32 v13, v9, v12
	v_add_f16_e32 v9, v12, v9
	v_sub_f16_e32 v5, v5, v11
	v_sub_f16_e32 v0, v0, v8
	v_add_f16_e32 v1, v1, v4
	v_add_f16_e32 v94, v94, v84
	v_fmac_f16_e32 v99, 0xb70e, v89
	v_fmac_f16_e32 v100, 0xb70e, v87
	v_pack_b32_f16 v4, v9, v5
	v_pack_b32_f16 v0, v0, v1
	;; [unrolled: 1-line block ×3, first 2 shown]
	v_add_f16_e32 v8, v39, v95
	v_add_f16_e32 v1, v100, v94
	;; [unrolled: 1-line block ×3, first 2 shown]
	ds_store_2addr_b32 v168, v4, v0 offset0:28 offset1:35
	v_sub_f16_e32 v0, v91, v99
	ds_store_2addr_b32 v168, v10, v13 offset0:14 offset1:21
	v_add_f16_e32 v4, v37, v97
	v_add_f16_e32 v10, v38, v96
	v_sub_f16_e32 v13, v123, v33
	v_pack_b32_f16 v0, v0, v1
	v_sub_f16_e32 v1, v32, v98
	v_add_f16_e32 v14, v36, v122
	v_add_f16_e32 v33, v10, v4
	v_sub_f16_e32 v15, v122, v36
	ds_store_b32 v168, v0 offset:168
	v_add_f16_e32 v0, v32, v98
	v_lshrrev_b32_e32 v36, 16, v6
	v_add_f16_e32 v33, v14, v33
	v_sub_f16_e32 v5, v37, v97
	v_sub_f16_e32 v9, v39, v95
	v_add_f16_e32 v32, v8, v0
	v_sub_f16_e32 v11, v38, v96
	v_add_f16_e32 v36, v33, v36
	v_add_f16_e32 v124, v99, v91
	v_sub_f16_e32 v39, v13, v9
	v_add_f16_e32 v32, v12, v32
	v_add_f16_e32 v80, v15, v11
	v_lshlrev_b32_e32 v37, 16, v36
	v_sub_f16_e32 v83, v15, v11
	v_fmac_f16_e32 v36, 0xbcab, v33
	v_add_f16_e32 v6, v32, v6
	v_sub_f16_e32 v33, v4, v14
	v_sub_f16_e32 v14, v14, v10
	;; [unrolled: 1-line block ×3, first 2 shown]
	v_add_f16_e32 v80, v80, v5
	v_and_b32_e32 v38, 0xffff, v6
	v_fmac_f16_e32 v6, 0xbcab, v32
	v_sub_f16_e32 v32, v0, v12
	v_sub_f16_e32 v12, v12, v8
	v_mul_f16_e32 v39, 0x3846, v39
	v_or_b32_e32 v37, v37, v38
	v_add_f16_e32 v38, v13, v9
	v_sub_f16_e32 v13, v1, v13
	v_mul_f16_e32 v83, 0x3846, v83
	v_sub_f16_e32 v5, v11, v5
	v_mul_f16_e32 v32, 0x3a52, v32
	v_add_f16_e32 v38, v38, v1
	v_sub_f16_e32 v1, v9, v1
	v_mul_f16_e32 v33, 0x3a52, v33
	v_sub_f16_e32 v0, v8, v0
	v_sub_f16_e32 v4, v10, v4
	v_mul_f16_e32 v8, 0x2b26, v12
	v_mul_f16_e32 v9, 0x2b26, v14
	v_fma_f16 v10, v1, 0xbb00, -v39
	v_mul_f16_e32 v1, 0x3b00, v1
	v_fma_f16 v11, v5, 0xbb00, -v83
	;; [unrolled: 2-line block ×3, first 2 shown]
	v_fma_f16 v0, v0, 0xb9e0, -v32
	v_fma_f16 v9, v4, 0x39e0, -v9
	;; [unrolled: 1-line block ×3, first 2 shown]
	v_fmac_f16_e32 v1, 0x3574, v13
	v_fmac_f16_e32 v5, 0x3574, v15
	v_sub_f16_e32 v125, v94, v100
	v_fmamk_f16 v84, v12, 0x2b26, v32
	v_add_f16_e32 v0, v0, v6
	v_add_f16_e32 v4, v4, v36
	v_fmac_f16_e32 v1, 0xb70e, v38
	v_fmac_f16_e32 v5, 0xb70e, v80
	v_pack_b32_f16 v124, v124, v125
	v_add_f16_e32 v84, v84, v6
	v_add_f16_e32 v8, v8, v6
	;; [unrolled: 1-line block ×3, first 2 shown]
	v_fmac_f16_e32 v10, 0xb70e, v38
	v_fmac_f16_e32 v11, 0xb70e, v80
	v_add_f16_e32 v9, v5, v0
	v_sub_f16_e32 v12, v4, v1
	ds_store_2addr_b32 v168, v86, v124 offset1:7
	v_fmamk_f16 v85, v14, 0x2b26, v33
	v_fmamk_f16 v86, v15, 0xb574, v83
	;; [unrolled: 1-line block ×3, first 2 shown]
	v_pack_b32_f16 v9, v9, v12
	v_sub_f16_e32 v12, v8, v11
	v_add_f16_e32 v13, v10, v6
	v_add_f16_e32 v8, v11, v8
	v_sub_f16_e32 v6, v6, v10
	v_sub_f16_e32 v0, v0, v5
	v_add_f16_e32 v1, v1, v4
	v_add_f16_e32 v85, v85, v36
	v_fmac_f16_e32 v86, 0xb70e, v80
	v_fmac_f16_e32 v87, 0xb70e, v38
	v_pack_b32_f16 v4, v8, v6
	v_pack_b32_f16 v0, v0, v1
	v_pack_b32_f16 v12, v12, v13
	v_add_f16_e32 v6, v24, v93
	v_add_f16_e32 v1, v87, v85
	v_sub_f16_e32 v8, v24, v93
	ds_store_2addr_b32 v163, v4, v0 offset0:28 offset1:35
	v_sub_f16_e32 v0, v84, v86
	ds_store_2addr_b32 v163, v9, v12 offset0:14 offset1:21
	v_add_f16_e32 v4, v29, v92
	v_add_f16_e32 v9, v26, v82
	;; [unrolled: 1-line block ×3, first 2 shown]
	v_pack_b32_f16 v0, v0, v1
	v_add_f16_e32 v13, v27, v23
	v_sub_f16_e32 v14, v23, v27
	v_add_f16_e32 v24, v9, v4
	v_lshrrev_b32_e32 v23, 16, v7
	ds_store_b32 v163, v0 offset:168
	v_add_f16_e32 v0, v30, v81
	v_sub_f16_e32 v10, v26, v82
	v_add_f16_e32 v24, v13, v24
	v_sub_f16_e32 v12, v25, v28
	v_sub_f16_e32 v1, v30, v81
	v_add_f16_e32 v15, v6, v0
	v_sub_f16_e32 v5, v29, v92
	v_add_f16_e32 v23, v24, v23
	;; [unrolled: 2-line block ×3, first 2 shown]
	v_add_f16_e32 v15, v11, v15
	v_sub_f16_e32 v29, v14, v10
	v_lshlrev_b32_e32 v25, 16, v23
	v_fmac_f16_e32 v23, 0xbcab, v24
	v_sub_f16_e32 v24, v4, v13
	v_add_f16_e32 v7, v15, v7
	v_sub_f16_e32 v13, v13, v9
	v_sub_f16_e32 v14, v5, v14
	v_add_f16_e32 v28, v28, v5
	v_mul_f16_e32 v27, 0x3846, v27
	v_and_b32_e32 v26, 0xffff, v7
	v_fmac_f16_e32 v7, 0xbcab, v15
	v_sub_f16_e32 v15, v0, v11
	v_sub_f16_e32 v11, v11, v6
	v_mul_f16_e32 v29, 0x3846, v29
	v_or_b32_e32 v25, v25, v26
	v_add_f16_e32 v26, v12, v8
	v_sub_f16_e32 v12, v1, v12
	v_sub_f16_e32 v5, v10, v5
	v_mul_f16_e32 v15, 0x3a52, v15
	v_mul_f16_e32 v24, 0x3a52, v24
	v_add_f16_e32 v26, v26, v1
	v_sub_f16_e32 v1, v8, v1
	v_sub_f16_e32 v0, v6, v0
	;; [unrolled: 1-line block ×3, first 2 shown]
	v_mul_f16_e32 v6, 0x2b26, v11
	v_mul_f16_e32 v8, 0x2b26, v13
	v_fma_f16 v9, v1, 0xbb00, -v27
	v_mul_f16_e32 v1, 0x3b00, v1
	v_fma_f16 v10, v5, 0xbb00, -v29
	;; [unrolled: 2-line block ×3, first 2 shown]
	v_fma_f16 v0, v0, 0xb9e0, -v15
	v_fma_f16 v8, v4, 0x39e0, -v8
	;; [unrolled: 1-line block ×3, first 2 shown]
	v_fmac_f16_e32 v1, 0x3574, v12
	v_fmac_f16_e32 v5, 0x3574, v14
	v_fmamk_f16 v30, v11, 0x2b26, v15
	v_add_f16_e32 v0, v0, v7
	v_add_f16_e32 v4, v4, v23
	v_fmac_f16_e32 v1, 0xb70e, v26
	v_fmac_f16_e32 v5, 0xb70e, v28
	v_add_f16_e32 v30, v30, v7
	v_add_f16_e32 v6, v6, v7
	;; [unrolled: 1-line block ×3, first 2 shown]
	v_fmac_f16_e32 v9, 0xb70e, v26
	v_fmac_f16_e32 v10, 0xb70e, v28
	v_add_f16_e32 v8, v5, v0
	v_sub_f16_e32 v11, v4, v1
	v_add_f16_e32 v88, v86, v84
	v_sub_f16_e32 v89, v85, v87
	v_fmamk_f16 v32, v13, 0x2b26, v24
	v_fmamk_f16 v33, v14, 0xb574, v29
	;; [unrolled: 1-line block ×3, first 2 shown]
	v_pack_b32_f16 v8, v8, v11
	v_sub_f16_e32 v11, v6, v10
	v_add_f16_e32 v12, v9, v7
	v_add_f16_e32 v6, v10, v6
	v_sub_f16_e32 v7, v7, v9
	v_sub_f16_e32 v0, v0, v5
	v_add_f16_e32 v1, v1, v4
	v_pack_b32_f16 v88, v88, v89
	v_add_f16_e32 v32, v32, v23
	v_fmac_f16_e32 v33, 0xb70e, v28
	v_fmac_f16_e32 v36, 0xb70e, v26
	v_pack_b32_f16 v4, v6, v7
	v_pack_b32_f16 v0, v0, v1
	ds_store_2addr_b32 v163, v37, v88 offset1:7
	v_pack_b32_f16 v11, v11, v12
	v_add_f16_e32 v1, v36, v32
	v_add_f16_e32 v5, v3, v19
	ds_store_2addr_b32 v166, v4, v0 offset0:28 offset1:35
	v_sub_f16_e32 v0, v30, v33
	v_add_f16_e32 v6, v17, v31
	ds_store_2addr_b32 v166, v8, v11 offset0:14 offset1:21
	v_add_f16_e32 v8, v20, v22
	v_add_f16_e32 v10, v16, v18
	v_pack_b32_f16 v0, v0, v1
	v_sub_f16_e32 v1, v2, v34
	v_lshrrev_b32_e32 v13, 16, v121
	v_sub_f16_e32 v3, v3, v19
	v_sub_f16_e32 v7, v17, v31
	ds_store_b32 v166, v0 offset:168
	v_add_f16_e32 v0, v2, v34
	v_add_f16_e32 v2, v21, v35
	v_sub_f16_e32 v9, v22, v20
	v_sub_f16_e32 v11, v18, v16
	;; [unrolled: 1-line block ×3, first 2 shown]
	v_add_f16_e32 v12, v5, v0
	v_add_f16_e32 v15, v6, v2
	v_sub_f16_e32 v18, v9, v3
	v_sub_f16_e32 v20, v11, v7
	v_add_f16_e32 v19, v11, v7
	v_add_f16_e32 v12, v8, v12
	;; [unrolled: 1-line block ×3, first 2 shown]
	v_mul_f16_e32 v18, 0x3846, v18
	v_mul_f16_e32 v20, 0x3846, v20
	v_sub_f16_e32 v11, v4, v11
	v_add_f16_e32 v14, v12, v121
	v_add_f16_e32 v13, v15, v13
	;; [unrolled: 1-line block ×4, first 2 shown]
	v_sub_f16_e32 v38, v32, v36
	v_and_b32_e32 v17, 0xffff, v14
	v_lshlrev_b32_e32 v16, 16, v13
	v_fmac_f16_e32 v14, 0xbcab, v12
	v_fmac_f16_e32 v13, 0xbcab, v15
	v_sub_f16_e32 v12, v0, v8
	v_sub_f16_e32 v8, v8, v5
	v_or_b32_e32 v16, v16, v17
	v_add_f16_e32 v17, v9, v3
	v_sub_f16_e32 v15, v2, v10
	v_sub_f16_e32 v10, v10, v6
	;; [unrolled: 1-line block ×3, first 2 shown]
	v_mul_f16_e32 v12, 0x3a52, v12
	v_add_f16_e32 v17, v17, v1
	v_sub_f16_e32 v1, v3, v1
	v_sub_f16_e32 v3, v7, v4
	v_mul_f16_e32 v15, 0x3a52, v15
	v_sub_f16_e32 v0, v5, v0
	v_sub_f16_e32 v2, v6, v2
	v_mul_f16_e32 v4, 0x2b26, v8
	v_mul_f16_e32 v5, 0x2b26, v10
	v_fma_f16 v6, v1, 0xbb00, -v18
	v_mul_f16_e32 v1, 0x3b00, v1
	v_fma_f16 v7, v3, 0xbb00, -v20
	;; [unrolled: 2-line block ×3, first 2 shown]
	v_fma_f16 v0, v0, 0xb9e0, -v12
	v_fma_f16 v5, v2, 0x39e0, -v5
	;; [unrolled: 1-line block ×3, first 2 shown]
	v_fmac_f16_e32 v1, 0x3574, v9
	v_fmac_f16_e32 v3, 0x3574, v11
	v_add_f16_e32 v0, v0, v14
	v_fmamk_f16 v21, v8, 0x2b26, v12
	v_add_f16_e32 v2, v2, v13
	v_fmac_f16_e32 v1, 0xb70e, v17
	v_fmac_f16_e32 v3, 0xb70e, v19
	v_fmamk_f16 v24, v9, 0xb574, v18
	v_add_f16_e32 v4, v4, v14
	v_add_f16_e32 v5, v5, v13
	v_fmac_f16_e32 v6, 0xb70e, v17
	v_fmac_f16_e32 v7, 0xb70e, v19
	v_add_f16_e32 v8, v3, v0
	v_sub_f16_e32 v9, v2, v1
	v_fmamk_f16 v22, v10, 0x2b26, v15
	v_fmamk_f16 v23, v11, 0xb574, v20
	v_add_f16_e32 v10, v6, v5
	v_sub_f16_e32 v5, v5, v6
	v_pack_b32_f16 v8, v8, v9
	v_sub_f16_e32 v9, v4, v7
	v_add_f16_e32 v4, v7, v4
	v_sub_f16_e32 v0, v0, v3
	v_add_f16_e32 v1, v1, v2
	v_pack_b32_f16 v37, v37, v38
	v_add_f16_e32 v21, v21, v14
	v_add_f16_e32 v22, v22, v13
	v_fmac_f16_e32 v23, 0xb70e, v19
	v_fmac_f16_e32 v24, 0xb70e, v17
	v_pack_b32_f16 v2, v4, v5
	v_pack_b32_f16 v0, v0, v1
	ds_store_2addr_b32 v166, v25, v37 offset1:7
	v_add_f16_e32 v25, v23, v21
	v_sub_f16_e32 v26, v22, v24
	v_add_f16_e32 v1, v24, v22
	ds_store_2addr_b32 v167, v2, v0 offset0:28 offset1:35
	v_sub_f16_e32 v0, v21, v23
	v_pack_b32_f16 v9, v9, v10
	v_pack_b32_f16 v25, v25, v26
	v_lshrrev_b32_e32 v33, 16, v196
	s_delay_alu instid0(VALU_DEP_4)
	v_pack_b32_f16 v0, v0, v1
	ds_store_2addr_b32 v167, v8, v9 offset0:14 offset1:21
	ds_store_2addr_b32 v167, v16, v25 offset1:7
	ds_store_b32 v167, v0 offset:168
	global_wb scope:SCOPE_SE
	s_wait_dscnt 0x0
	s_barrier_signal -1
	s_barrier_wait -1
	global_inv scope:SCOPE_SE
	ds_load_2addr_b32 v[0:1], v181 offset0:174 offset1:223
	s_wait_dscnt 0x0
	v_lshrrev_b32_e32 v2, 16, v0
	v_lshrrev_b32_e32 v4, 16, v1
	v_mul_f16_e64 v3, v184, v0
	v_mul_f16_e64 v5, v184, v1
	s_delay_alu instid0(VALU_DEP_4) | instskip(NEXT) | instid1(VALU_DEP_4)
	v_mul_f16_e64 v10, v184, v2
	v_mul_f16_e64 v94, v184, v4
	s_delay_alu instid0(VALU_DEP_4) | instskip(NEXT) | instid1(VALU_DEP_4)
	v_fma_f16 v13, v213, v2, -v3
	v_fma_f16 v98, v213, v4, -v5
	s_delay_alu instid0(VALU_DEP_4) | instskip(NEXT) | instid1(VALU_DEP_4)
	v_fmac_f16_e64 v10, v213, v0
	v_fmac_f16_e64 v94, v213, v1
	ds_load_2addr_b32 v[0:1], v223 offset0:92 offset1:141
	s_wait_dscnt 0x0
	v_lshrrev_b32_e32 v6, 16, v0
	v_lshrrev_b32_e32 v9, 16, v1
	v_mul_f16_e64 v12, v188, v1
	s_delay_alu instid0(VALU_DEP_3) | instskip(NEXT) | instid1(VALU_DEP_3)
	v_mul_f16_e64 v11, v188, v6
	v_mul_f16_e64 v97, v188, v9
	s_delay_alu instid0(VALU_DEP_3) | instskip(SKIP_1) | instid1(VALU_DEP_4)
	v_fma_f16 v123, v215, v9, -v12
	v_lshrrev_b32_e32 v12, 16, v52
	v_fmac_f16_e64 v11, v215, v0
	v_mul_f16_e64 v0, v188, v0
	v_fmac_f16_e64 v97, v215, v1
	s_delay_alu instid0(VALU_DEP_2) | instskip(SKIP_4) | instid1(VALU_DEP_2)
	v_fma_f16 v14, v215, v6, -v0
	ds_load_2addr_b32 v[0:1], v252 offset0:38 offset1:87
	s_wait_dscnt 0x0
	v_lshrrev_b32_e32 v2, 16, v1
	v_mul_f16_e64 v3, v177, v1
	v_mul_f16_e64 v85, v177, v2
	s_delay_alu instid0(VALU_DEP_2)
	v_fma_f16 v15, v212, v2, -v3
	ds_load_2addr_b32 v[2:3], v252 offset0:136 offset1:185
	v_fmac_f16_e64 v85, v212, v1
	s_wait_dscnt 0x0
	v_lshrrev_b32_e32 v6, 16, v2
	v_mul_f16_e64 v7, v177, v2
	v_lshrrev_b32_e32 v1, 16, v3
	s_delay_alu instid0(VALU_DEP_3) | instskip(NEXT) | instid1(VALU_DEP_3)
	v_mul_f16_e64 v99, v177, v6
	v_fma_f16 v100, v212, v6, -v7
	ds_load_2addr_b32 v[5:6], v170 offset0:84 offset1:133
	v_fmac_f16_e64 v99, v212, v2
	v_lshrrev_b32_e32 v2, 16, v56
	s_delay_alu instid0(VALU_DEP_1) | instskip(SKIP_1) | instid1(VALU_DEP_2)
	v_mul_f16_e32 v82, v2, v1
	v_mul_f16_e32 v2, v2, v3
	v_fmac_f16_e32 v82, v56, v3
	s_delay_alu instid0(VALU_DEP_2) | instskip(SKIP_4) | instid1(VALU_DEP_2)
	v_fma_f16 v91, v56, v1, -v2
	ds_load_2addr_b32 v[1:2], v195 offset0:16 offset1:65
	s_wait_dscnt 0x1
	v_lshrrev_b32_e32 v4, 16, v6
	v_mul_f16_e64 v7, v183, v6
	v_mul_f16_e64 v88, v183, v4
	s_delay_alu instid0(VALU_DEP_2)
	v_fma_f16 v87, v214, v4, -v7
	ds_load_2addr_b32 v[7:8], v208 offset0:54 offset1:103
	v_fmac_f16_e64 v88, v214, v6
	s_wait_dscnt 0x1
	v_lshrrev_b32_e32 v6, 16, v1
	s_wait_dscnt 0x0
	v_lshrrev_b32_e32 v4, 16, v7
	v_mul_f16_e64 v16, v183, v7
	v_lshrrev_b32_e32 v3, 16, v8
	s_delay_alu instid0(VALU_DEP_3) | instskip(NEXT) | instid1(VALU_DEP_3)
	v_mul_f16_e64 v121, v183, v4
	v_fma_f16 v122, v214, v4, -v16
	v_lshrrev_b32_e32 v4, 16, v58
	s_delay_alu instid0(VALU_DEP_3) | instskip(NEXT) | instid1(VALU_DEP_2)
	v_fmac_f16_e64 v121, v214, v7
	v_mul_f16_e32 v89, v4, v3
	v_mul_f16_e32 v4, v4, v8
	s_delay_alu instid0(VALU_DEP_2) | instskip(NEXT) | instid1(VALU_DEP_2)
	v_fmac_f16_e32 v89, v58, v8
	v_fma_f16 v90, v58, v3, -v4
	ds_load_2addr_b32 v[3:4], v223 offset0:190 offset1:239
	v_lshrrev_b32_e32 v8, 16, v57
	s_delay_alu instid0(VALU_DEP_1) | instskip(SKIP_2) | instid1(VALU_DEP_3)
	v_mul_f16_e32 v7, v8, v1
	v_mul_f16_e32 v93, v8, v6
	v_lshrrev_b32_e32 v8, 16, v59
	v_fma_f16 v92, v57, v6, -v7
	s_delay_alu instid0(VALU_DEP_3) | instskip(SKIP_4) | instid1(VALU_DEP_2)
	v_fmac_f16_e32 v93, v57, v1
	v_lshrrev_b32_e32 v1, 16, v53
	s_wait_dscnt 0x0
	v_lshrrev_b32_e32 v6, 16, v3
	v_mul_f16_e32 v7, v8, v3
	v_mul_f16_e32 v96, v8, v6
	s_delay_alu instid0(VALU_DEP_2) | instskip(SKIP_2) | instid1(VALU_DEP_4)
	v_fma_f16 v95, v59, v6, -v7
	v_mul_f16_e32 v6, v1, v2
	v_lshrrev_b32_e32 v7, 16, v4
	v_fmac_f16_e32 v96, v59, v3
	v_lshrrev_b32_e32 v3, 16, v2
	s_delay_alu instid0(VALU_DEP_1) | instskip(SKIP_1) | instid1(VALU_DEP_2)
	v_mul_f16_e32 v39, v1, v3
	v_lshrrev_b32_e32 v1, 16, v55
	v_fmac_f16_e32 v39, v53, v2
	s_delay_alu instid0(VALU_DEP_2)
	v_mul_f16_e32 v56, v1, v7
	v_mul_f16_e32 v8, v1, v4
	ds_load_2addr_b32 v[1:2], v217 offset0:106 offset1:155
	v_fma_f16 v53, v53, v3, -v6
	v_fmac_f16_e32 v56, v55, v4
	v_fma_f16 v55, v55, v7, -v8
	s_wait_dscnt 0x0
	v_lshrrev_b32_e32 v4, 16, v1
	v_mul_f16_e32 v9, v12, v1
	s_delay_alu instid0(VALU_DEP_2) | instskip(NEXT) | instid1(VALU_DEP_2)
	v_mul_f16_e32 v81, v12, v4
	v_fma_f16 v59, v52, v4, -v9
	ds_load_2addr_b32 v[3:4], v208 offset0:152 offset1:201
	v_lshrrev_b32_e32 v12, 16, v54
	v_fmac_f16_e32 v81, v52, v1
	v_lshrrev_b32_e32 v1, 16, v2
	s_wait_dscnt 0x0
	v_lshrrev_b32_e32 v6, 16, v3
	v_mul_f16_e32 v9, v12, v3
	s_delay_alu instid0(VALU_DEP_2) | instskip(NEXT) | instid1(VALU_DEP_2)
	v_mul_f16_e32 v58, v12, v6
	v_fma_f16 v57, v54, v6, -v9
	v_lshrrev_b32_e32 v6, 16, v50
	v_lshrrev_b32_e32 v12, 16, v46
	s_delay_alu instid0(VALU_DEP_4) | instskip(SKIP_1) | instid1(VALU_DEP_1)
	v_fmac_f16_e32 v58, v54, v3
	v_lshrrev_b32_e32 v3, 16, v48
	v_mul_f16_e32 v29, v3, v1
	s_delay_alu instid0(VALU_DEP_1) | instskip(SKIP_2) | instid1(VALU_DEP_2)
	v_fmac_f16_e32 v29, v48, v2
	v_mul_f16_e32 v2, v3, v2
	v_lshrrev_b32_e32 v3, 16, v4
	v_fma_f16 v34, v48, v1, -v2
	s_delay_alu instid0(VALU_DEP_2) | instskip(SKIP_3) | instid1(VALU_DEP_1)
	v_mul_f16_e32 v30, v6, v3
	ds_load_2addr_b32 v[1:2], v195 offset0:114 offset1:163
	v_fmac_f16_e32 v30, v50, v4
	v_mul_f16_e32 v4, v6, v4
	v_fma_f16 v32, v50, v3, -v4
	ds_load_2addr_b32 v[3:4], v194 offset0:32 offset1:81
	s_wait_dscnt 0x1
	v_lshrrev_b32_e32 v6, 16, v1
	v_mul_f16_e64 v7, v253, v1
	s_delay_alu instid0(VALU_DEP_2) | instskip(NEXT) | instid1(VALU_DEP_2)
	v_mul_f16_e64 v36, v253, v6
	v_fma_f16 v35, v49, v6, -v7
	s_delay_alu instid0(VALU_DEP_2) | instskip(SKIP_4) | instid1(VALU_DEP_3)
	v_fmac_f16_e32 v36, v49, v1
	s_wait_dscnt 0x0
	v_lshrrev_b32_e32 v6, 16, v3
	v_mul_f16_e64 v7, v247, v3
	v_lshrrev_b32_e32 v8, 16, v4
	v_mul_f16_e64 v38, v247, v6
	s_delay_alu instid0(VALU_DEP_3) | instskip(SKIP_1) | instid1(VALU_DEP_4)
	v_fma_f16 v37, v51, v6, -v7
	v_mul_f16_e64 v6, v234, v2
	v_mul_f16_e64 v20, v242, v8
	s_delay_alu instid0(VALU_DEP_4) | instskip(SKIP_1) | instid1(VALU_DEP_3)
	v_fmac_f16_e32 v38, v51, v3
	v_lshrrev_b32_e32 v3, 16, v2
	v_fmac_f16_e32 v20, v47, v4
	v_mul_f16_e64 v4, v242, v4
	s_delay_alu instid0(VALU_DEP_3) | instskip(SKIP_1) | instid1(VALU_DEP_3)
	v_mul_f16_e64 v19, v234, v3
	v_fma_f16 v21, v45, v3, -v6
	v_fma_f16 v24, v47, v8, -v4
	v_mul_f16_e64 v8, v185, v5
	s_delay_alu instid0(VALU_DEP_4) | instskip(SKIP_4) | instid1(VALU_DEP_2)
	v_fmac_f16_e32 v19, v45, v2
	ds_load_2addr_b32 v[1:2], v181 offset0:76 offset1:125
	s_wait_dscnt 0x0
	v_lshrrev_b32_e32 v7, 16, v1
	v_mul_f16_e64 v9, v228, v1
	v_mul_f16_e64 v26, v228, v7
	s_delay_alu instid0(VALU_DEP_2)
	v_fma_f16 v25, v44, v7, -v9
	ds_load_2addr_b32 v[6:7], v155 offset0:122 offset1:171
	v_fmac_f16_e32 v26, v44, v1
	v_lshrrev_b32_e32 v1, 16, v2
	s_wait_dscnt 0x0
	v_lshrrev_b32_e32 v3, 16, v6
	v_mul_f16_e32 v9, v12, v6
	s_delay_alu instid0(VALU_DEP_2) | instskip(NEXT) | instid1(VALU_DEP_2)
	v_mul_f16_e32 v23, v12, v3
	v_fma_f16 v22, v46, v3, -v9
	v_mul_f16_e64 v3, v180, v1
	v_lshrrev_b32_e32 v9, 16, v7
	v_mul_f16_e64 v12, v186, v7
	v_fmac_f16_e32 v23, v46, v6
	v_lshrrev_b32_e32 v6, 16, v5
	v_fmac_f16_e32 v3, v40, v2
	v_mul_f16_e64 v2, v180, v2
	s_delay_alu instid0(VALU_DEP_3) | instskip(NEXT) | instid1(VALU_DEP_2)
	v_mul_f16_e64 v4, v185, v6
	v_fma_f16 v16, v40, v1, -v2
	ds_load_2addr_b32 v[1:2], v194 offset0:130 offset1:179
	v_fmac_f16_e32 v4, v41, v5
	v_mul_f16_e64 v5, v186, v9
	s_delay_alu instid0(VALU_DEP_1)
	v_fmac_f16_e32 v5, v42, v7
	v_fma_f16 v7, v41, v6, -v8
	v_fma_f16 v6, v42, v9, -v12
	s_wait_dscnt 0x0
	v_lshrrev_b32_e32 v8, 16, v1
	v_mul_f16_e64 v9, v189, v1
	v_lshrrev_b32_e32 v28, 16, v2
	s_delay_alu instid0(VALU_DEP_3) | instskip(NEXT) | instid1(VALU_DEP_3)
	v_mul_f16_e64 v18, v189, v8
	v_fma_f16 v17, v43, v8, -v9
	ds_load_2addr_b32 v[8:9], v187 offset0:10 offset1:59
	v_mul_f16_e64 v128, v162, v28
	v_fmac_f16_e32 v18, v43, v1
	s_delay_alu instid0(VALU_DEP_2) | instskip(SKIP_1) | instid1(VALU_DEP_1)
	v_fmac_f16_e64 v128, v248, v2
	v_mul_f16_e64 v2, v162, v2
	v_fma_f16 v129, v248, v28, -v2
	s_wait_dscnt 0x0
	v_lshrrev_b32_e32 v1, 16, v8
	v_lshrrev_b32_e32 v27, 16, v9
	s_delay_alu instid0(VALU_DEP_2) | instskip(NEXT) | instid1(VALU_DEP_2)
	v_mul_f16_e64 v12, v165, v1
	v_mul_f16_e64 v124, v165, v27
	s_delay_alu instid0(VALU_DEP_2) | instskip(SKIP_1) | instid1(VALU_DEP_3)
	v_fmac_f16_e64 v12, v249, v8
	v_mul_f16_e64 v8, v165, v8
	v_fmac_f16_e64 v124, v249, v9
	v_mul_f16_e64 v9, v165, v9
	s_delay_alu instid0(VALU_DEP_4) | instskip(NEXT) | instid1(VALU_DEP_4)
	v_add_f16_e32 v80, v85, v12
	v_fma_f16 v8, v249, v1, -v8
	ds_load_2addr_b32 v[1:2], v246 offset0:100 offset1:149
	v_fma_f16 v127, v249, v27, -v9
	v_lshrrev_b32_e32 v9, 16, v192
	v_sub_f16_e32 v85, v85, v12
	v_sub_f16_e32 v12, v14, v87
	;; [unrolled: 1-line block ×3, first 2 shown]
	s_wait_dscnt 0x0
	v_lshrrev_b32_e32 v28, 16, v1
	v_mul_f16_e64 v31, v162, v1
	s_delay_alu instid0(VALU_DEP_2) | instskip(NEXT) | instid1(VALU_DEP_2)
	v_mul_f16_e64 v125, v162, v28
	v_fma_f16 v126, v248, v28, -v31
	v_lshrrev_b32_e32 v28, 16, v193
	s_delay_alu instid0(VALU_DEP_3) | instskip(SKIP_1) | instid1(VALU_DEP_1)
	v_fmac_f16_e64 v125, v248, v1
	v_lshrrev_b32_e32 v1, 16, v2
	v_mul_f16_e32 v52, v9, v1
	v_mul_f16_e32 v9, v9, v2
	s_delay_alu instid0(VALU_DEP_2) | instskip(NEXT) | instid1(VALU_DEP_2)
	v_fmac_f16_e64 v52, v192, v2
	v_fma_f16 v54, v192, v1, -v9
	ds_load_2addr_b32 v[1:2], v187 offset0:108 offset1:157
	s_wait_dscnt 0x0
	v_lshrrev_b32_e32 v9, 16, v1
	v_mul_f16_e32 v27, v28, v1
	s_delay_alu instid0(VALU_DEP_2) | instskip(NEXT) | instid1(VALU_DEP_2)
	v_mul_f16_e32 v84, v28, v9
	v_fma_f16 v83, v193, v9, -v27
	v_lshrrev_b32_e32 v9, 16, v2
	s_delay_alu instid0(VALU_DEP_3) | instskip(SKIP_1) | instid1(VALU_DEP_1)
	v_fmac_f16_e64 v84, v193, v1
	v_lshrrev_b32_e32 v1, 16, v197
	v_mul_f16_e32 v48, v1, v9
	v_mul_f16_e32 v27, v1, v2
	s_delay_alu instid0(VALU_DEP_2)
	v_fmac_f16_e64 v48, v197, v2
	ds_load_2addr_b32 v[1:2], v169 offset0:70 offset1:119
	v_fma_f16 v51, v197, v9, -v27
	v_lshrrev_b32_e32 v9, 16, v105
	s_wait_dscnt 0x0
	v_lshrrev_b32_e32 v28, 16, v1
	v_mul_f16_e32 v31, v33, v1
	s_delay_alu instid0(VALU_DEP_2) | instskip(NEXT) | instid1(VALU_DEP_2)
	v_mul_f16_e32 v50, v33, v28
	v_fma_f16 v49, v196, v28, -v31
	v_lshrrev_b32_e32 v28, 16, v106
	v_lshrrev_b32_e32 v33, 16, v103
	s_delay_alu instid0(VALU_DEP_4) | instskip(SKIP_1) | instid1(VALU_DEP_1)
	v_fmac_f16_e64 v50, v196, v1
	v_lshrrev_b32_e32 v1, 16, v2
	v_mul_f16_e32 v44, v9, v1
	v_mul_f16_e32 v9, v9, v2
	s_delay_alu instid0(VALU_DEP_2) | instskip(NEXT) | instid1(VALU_DEP_2)
	v_fmac_f16_e32 v44, v105, v2
	v_fma_f16 v45, v105, v1, -v9
	ds_load_2addr_b32 v[1:2], v187 offset0:206 offset1:255
	v_add_f16_e64 v105, v13, v129
	s_wait_dscnt 0x0
	v_lshrrev_b32_e32 v9, 16, v1
	v_mul_f16_e32 v27, v28, v1
	s_delay_alu instid0(VALU_DEP_2) | instskip(NEXT) | instid1(VALU_DEP_2)
	v_mul_f16_e32 v47, v28, v9
	v_fma_f16 v46, v106, v9, -v27
	v_lshrrev_b32_e32 v9, 16, v2
	s_delay_alu instid0(VALU_DEP_3) | instskip(SKIP_1) | instid1(VALU_DEP_1)
	v_fmac_f16_e32 v47, v106, v1
	v_lshrrev_b32_e32 v1, 16, v104
	v_mul_f16_e32 v40, v1, v9
	v_mul_f16_e32 v27, v1, v2
	s_delay_alu instid0(VALU_DEP_2)
	v_fmac_f16_e32 v40, v104, v2
	ds_load_2addr_b32 v[1:2], v169 offset0:168 offset1:217
	v_fma_f16 v43, v104, v9, -v27
	v_sub_f16_e64 v104, v13, v129
	v_sub_f16_e64 v129, v86, v12
	s_wait_dscnt 0x0
	v_lshrrev_b32_e32 v28, 16, v1
	v_mul_f16_e32 v31, v33, v1
	v_mul_f16_e64 v9, v209, v2
	s_delay_alu instid0(VALU_DEP_3) | instskip(NEXT) | instid1(VALU_DEP_3)
	v_mul_f16_e32 v42, v33, v28
	v_fma_f16 v41, v103, v28, -v31
	s_delay_alu instid0(VALU_DEP_2) | instskip(SKIP_2) | instid1(VALU_DEP_2)
	v_fmac_f16_e32 v42, v103, v1
	v_lshrrev_b32_e32 v1, 16, v2
	v_sub_f16_e64 v103, v10, v128
	v_mul_f16_e64 v27, v209, v1
	v_fma_f16 v28, v101, v1, -v9
	ds_load_b32 v1, v152 offset:9408
	v_fmac_f16_e32 v27, v101, v2
	v_add_f16_e32 v101, v15, v8
	s_wait_dscnt 0x0
	v_lshrrev_b32_e32 v2, 16, v1
	v_mul_f16_e64 v9, v216, v1
	s_delay_alu instid0(VALU_DEP_2) | instskip(NEXT) | instid1(VALU_DEP_2)
	v_mul_f16_e64 v31, v216, v2
	v_fma_f16 v33, v102, v2, -v9
	v_add_f16_e32 v9, v88, v11
	s_delay_alu instid0(VALU_DEP_3) | instskip(SKIP_3) | instid1(VALU_DEP_3)
	v_fmac_f16_e32 v31, v102, v1
	v_add_f16_e64 v102, v10, v128
	v_sub_f16_e32 v10, v11, v88
	v_add_f16_e32 v11, v87, v14
	v_add_f16_e32 v1, v102, v80
	v_sub_f16_e64 v132, v9, v102
	s_delay_alu instid0(VALU_DEP_3) | instskip(SKIP_1) | instid1(VALU_DEP_4)
	v_sub_f16_e64 v131, v11, v105
	v_sub_f16_e64 v128, v85, v10
	v_add_f16_e32 v13, v9, v1
	v_add_f16_e32 v1, v105, v101
	s_delay_alu instid0(VALU_DEP_1) | instskip(SKIP_4) | instid1(VALU_DEP_2)
	v_add_f16_e32 v14, v11, v1
	ds_load_2addr_b32 v[1:2], v152 offset1:49
	s_wait_dscnt 0x0
	v_lshrrev_b32_e32 v8, 16, v1
	v_add_f16_e32 v1, v13, v1
	v_add_f16_e32 v106, v14, v8
	s_delay_alu instid0(VALU_DEP_2)
	v_and_b32_e32 v15, 0xffff, v1
	v_fmac_f16_e32 v1, 0xbcab, v13
	v_sub_f16_e32 v13, v80, v9
	v_add_f16_e32 v9, v10, v103
	v_lshlrev_b32_e32 v8, 16, v106
	v_fmac_f16_e32 v106, 0xbcab, v14
	v_sub_f16_e32 v14, v101, v11
	v_sub_f16_e32 v11, v10, v103
	v_mul_f16_e64 v137, 0x3a52, v13
	v_or_b32_e32 v8, v8, v15
	v_sub_f16_e32 v15, v12, v104
	v_add_f16_e32 v10, v12, v104
	v_mul_f16_e64 v135, 0x3a52, v14
	v_mul_f16_e64 v136, 0x3846, v11
	v_fma_f16 v11, 0x2b26, v132, v137
	v_mul_f16_e64 v133, 0x3846, v15
	v_add_f16_e32 v9, v9, v85
	v_add_f16_e32 v10, v10, v86
	v_fma_f16 v134, 0xb574, v128, v136
	v_add_f16_e32 v87, v11, v1
	v_fma_f16 v11, 0x2b26, v131, v135
	v_fma_f16 v130, 0xb574, v129, v133
	s_delay_alu instid0(VALU_DEP_4) | instskip(NEXT) | instid1(VALU_DEP_3)
	v_fmac_f16_e64 v134, 0xb70e, v9
	v_add_f16_e32 v88, v11, v106
	s_delay_alu instid0(VALU_DEP_3) | instskip(NEXT) | instid1(VALU_DEP_2)
	v_fmac_f16_e64 v130, 0xb70e, v10
	v_sub_f16_e64 v138, v88, v134
	s_delay_alu instid0(VALU_DEP_2) | instskip(NEXT) | instid1(VALU_DEP_1)
	v_add_f16_e64 v11, v130, v87
	v_pack_b32_f16 v15, v11, v138
	ds_load_2addr_b32 v[11:12], v152 offset0:98 offset1:147
	ds_load_2addr_b32 v[13:14], v152 offset0:196 offset1:245
	global_wb scope:SCOPE_SE
	s_wait_dscnt 0x0
	s_barrier_signal -1
	s_barrier_wait -1
	global_inv scope:SCOPE_SE
	ds_store_2addr_b32 v152, v8, v15 offset1:49
	v_sub_f16_e32 v8, v102, v80
	v_sub_f16_e32 v80, v103, v85
	;; [unrolled: 1-line block ×4, first 2 shown]
	v_mul_f16_e64 v86, 0x2b26, v132
	v_mul_f16_e64 v101, 0x2b26, v131
	v_fma_f16 v102, v80, 0xbb00, -v136
	v_mul_f16_e32 v80, 0x3b00, v80
	v_fma_f16 v103, v85, 0xbb00, -v133
	v_mul_f16_e32 v85, 0x3b00, v85
	v_fma_f16 v86, v8, 0x39e0, -v86
	v_fma_f16 v8, v8, 0xb9e0, -v137
	;; [unrolled: 1-line block ×4, first 2 shown]
	v_fmac_f16_e64 v80, 0x3574, v128
	v_fmac_f16_e64 v85, 0x3574, v129
	v_add_f16_e32 v86, v86, v1
	v_add_f16_e32 v1, v8, v1
	;; [unrolled: 1-line block ×3, first 2 shown]
	v_fmac_f16_e32 v80, 0xb70e, v9
	v_fmac_f16_e32 v85, 0xb70e, v10
	v_add_f16_e32 v8, v101, v106
	v_fmac_f16_e32 v102, 0xb70e, v9
	v_fmac_f16_e32 v103, 0xb70e, v10
	v_sub_f16_e32 v10, v15, v80
	v_add_f16_e32 v9, v85, v1
	v_sub_f16_e32 v1, v1, v85
	v_add_f16_e32 v101, v102, v8
	v_sub_f16_e32 v8, v8, v102
	v_lshrrev_b32_e32 v85, 16, v2
	v_pack_b32_f16 v9, v9, v10
	v_sub_f16_e32 v10, v86, v103
	s_delay_alu instid0(VALU_DEP_1)
	v_pack_b32_f16 v10, v10, v101
	ds_store_2addr_b32 v152, v9, v10 offset0:98 offset1:147
	v_add_f16_e32 v9, v103, v86
	v_add_f16_e32 v10, v80, v15
	;; [unrolled: 1-line block ×4, first 2 shown]
	v_sub_f16_e32 v97, v97, v121
	v_pack_b32_f16 v8, v9, v8
	v_pack_b32_f16 v1, v1, v10
	v_add_f16_e32 v9, v99, v124
	v_add_f16_e32 v10, v94, v125
	v_sub_f16_e32 v94, v94, v125
	ds_store_2addr_b32 v152, v8, v1 offset0:196 offset1:245
	v_sub_f16_e64 v1, v87, v130
	v_add_f16_e32 v87, v98, v126
	v_add_f16_e64 v8, v134, v88
	v_add_f16_e32 v80, v10, v9
	v_add_f16_e32 v88, v122, v123
	v_sub_f16_e32 v98, v98, v126
	v_add_f16_e32 v101, v87, v86
	v_pack_b32_f16 v1, v1, v8
	v_add_f16_e32 v80, v15, v80
	v_sub_f16_e32 v8, v100, v127
	v_sub_f16_e32 v100, v10, v9
	v_add_f16_e32 v101, v88, v101
	v_sub_f16_e32 v9, v9, v15
	v_add_f16_e32 v2, v80, v2
	v_sub_f16_e32 v10, v15, v10
	v_sub_f16_e32 v15, v87, v86
	v_add_f16_e32 v85, v101, v85
	v_sub_f16_e32 v86, v86, v88
	v_and_b32_e32 v103, 0xffff, v2
	v_sub_f16_e32 v87, v88, v87
	v_add_f16_e32 v88, v97, v94
	v_lshlrev_b32_e32 v102, 16, v85
	v_fmac_f16_e32 v2, 0xbcab, v80
	v_mul_f16_e32 v9, 0x3a52, v9
	v_mul_f16_e32 v80, 0x3a52, v86
	v_fmac_f16_e32 v85, 0xbcab, v101
	v_or_b32_e32 v102, v102, v103
	s_delay_alu instid0(VALU_DEP_3)
	v_fmamk_f16 v104, v87, 0x2b26, v80
	v_mul_f16_e32 v87, 0x2b26, v87
	ds_store_2addr_b32 v252, v1, v102 offset0:38 offset1:87
	v_sub_f16_e32 v1, v99, v124
	v_sub_f16_e32 v99, v123, v122
	;; [unrolled: 1-line block ×3, first 2 shown]
	v_fma_f16 v80, v15, 0xb9e0, -v80
	v_fma_f16 v15, v15, 0x39e0, -v87
	v_sub_f16_e32 v97, v1, v97
	v_sub_f16_e32 v94, v94, v1
	v_add_f16_e32 v1, v88, v1
	v_add_f16_e32 v88, v99, v98
	v_sub_f16_e32 v103, v99, v98
	v_sub_f16_e32 v98, v98, v8
	;; [unrolled: 1-line block ×3, first 2 shown]
	v_mul_f16_e32 v86, 0x3846, v102
	v_add_f16_e32 v8, v88, v8
	v_mul_f16_e32 v88, 0x3846, v103
	v_mul_f16_e32 v101, 0x3b00, v94
	;; [unrolled: 1-line block ×3, first 2 shown]
	v_fmamk_f16 v103, v10, 0x2b26, v9
	v_mul_f16_e32 v10, 0x2b26, v10
	v_fma_f16 v9, v100, 0xb9e0, -v9
	v_fmac_f16_e32 v101, 0x3574, v97
	v_fmamk_f16 v97, v97, 0xb574, v86
	v_fmac_f16_e32 v102, 0x3574, v99
	v_fmamk_f16 v99, v99, 0xb574, v88
	v_fma_f16 v10, v100, 0x39e0, -v10
	v_fma_f16 v88, v98, 0xbb00, -v88
	;; [unrolled: 1-line block ×3, first 2 shown]
	v_add_f16_e32 v103, v103, v2
	v_fmac_f16_e32 v99, 0xb70e, v8
	v_add_f16_e32 v9, v9, v2
	v_fmac_f16_e32 v102, 0xb70e, v8
	;; [unrolled: 2-line block ×5, first 2 shown]
	v_fmac_f16_e32 v101, 0xb70e, v1
	v_sub_f16_e32 v1, v2, v88
	v_add_f16_e32 v2, v88, v2
	v_add_f16_e32 v10, v86, v8
	v_sub_f16_e32 v8, v8, v86
	v_add_f16_e32 v105, v99, v103
	v_sub_f16_e32 v106, v104, v97
	v_add_f16_e32 v80, v80, v85
	v_pack_b32_f16 v1, v1, v10
	v_pack_b32_f16 v2, v2, v8
	v_sub_f16_e32 v8, v103, v99
	v_pack_b32_f16 v105, v105, v106
	v_add_f16_e32 v106, v102, v9
	v_add_f16_e32 v10, v93, v52
	ds_store_2addr_b32 v217, v1, v2 offset0:106 offset1:155
	v_sub_f16_e32 v1, v9, v102
	v_add_f16_e32 v2, v101, v80
	v_add_f16_e32 v9, v97, v104
	v_sub_f16_e32 v15, v93, v52
	v_add_f16_e32 v52, v92, v54
	v_sub_f16_e32 v121, v80, v101
	v_pack_b32_f16 v1, v1, v2
	v_pack_b32_f16 v2, v8, v9
	v_add_f16_e32 v8, v91, v83
	v_sub_f16_e32 v9, v91, v83
	v_add_f16_e32 v80, v89, v96
	v_add_f16_e32 v83, v90, v95
	ds_store_2addr_b32 v181, v1, v2 offset0:76 offset1:125
	v_add_f16_e32 v1, v82, v84
	v_add_f16_e32 v86, v52, v8
	v_lshrrev_b32_e32 v87, 16, v11
	v_sub_f16_e32 v2, v82, v84
	v_sub_f16_e32 v54, v92, v54
	v_add_f16_e32 v85, v10, v1
	v_add_f16_e32 v86, v83, v86
	v_sub_f16_e32 v82, v96, v89
	v_sub_f16_e32 v84, v95, v90
	v_pack_b32_f16 v106, v106, v121
	v_add_f16_e32 v85, v80, v85
	v_add_f16_e32 v87, v86, v87
	v_sub_f16_e32 v90, v82, v15
	v_add_f16_e32 v91, v84, v54
	v_sub_f16_e32 v92, v84, v54
	v_add_f16_e32 v11, v85, v11
	v_lshlrev_b32_e32 v88, 16, v87
	v_fmac_f16_e32 v87, 0xbcab, v86
	v_sub_f16_e32 v86, v8, v83
	v_sub_f16_e32 v83, v83, v52
	v_and_b32_e32 v89, 0xffff, v11
	v_fmac_f16_e32 v11, 0xbcab, v85
	v_sub_f16_e32 v85, v1, v80
	v_sub_f16_e32 v80, v80, v10
	;; [unrolled: 1-line block ×3, first 2 shown]
	v_or_b32_e32 v88, v88, v89
	v_add_f16_e32 v89, v82, v15
	v_sub_f16_e32 v82, v2, v82
	v_add_f16_e32 v91, v91, v9
	v_mul_f16_e32 v90, 0x3846, v90
	v_mul_f16_e32 v92, 0x3846, v92
	v_add_f16_e32 v89, v89, v2
	v_sub_f16_e32 v2, v15, v2
	v_sub_f16_e32 v9, v54, v9
	v_mul_f16_e32 v85, 0x3a52, v85
	v_mul_f16_e32 v86, 0x3a52, v86
	v_sub_f16_e32 v1, v10, v1
	v_sub_f16_e32 v8, v52, v8
	v_mul_f16_e32 v10, 0x2b26, v80
	v_mul_f16_e32 v15, 0x2b26, v83
	v_fma_f16 v52, v2, 0xbb00, -v90
	v_mul_f16_e32 v2, 0x3b00, v2
	v_fma_f16 v54, v9, 0xbb00, -v92
	;; [unrolled: 2-line block ×3, first 2 shown]
	v_fma_f16 v1, v1, 0xb9e0, -v85
	v_fma_f16 v15, v8, 0x39e0, -v15
	;; [unrolled: 1-line block ×3, first 2 shown]
	v_fmac_f16_e32 v2, 0x3574, v82
	v_fmac_f16_e32 v9, 0x3574, v84
	v_fmamk_f16 v93, v80, 0x2b26, v85
	v_add_f16_e32 v1, v1, v11
	v_add_f16_e32 v8, v8, v87
	v_fmac_f16_e32 v2, 0xb70e, v89
	v_fmac_f16_e32 v9, 0xb70e, v91
	v_add_f16_e32 v93, v93, v11
	v_add_f16_e32 v10, v10, v11
	;; [unrolled: 1-line block ×3, first 2 shown]
	v_fmac_f16_e32 v52, 0xb70e, v89
	v_fmac_f16_e32 v54, 0xb70e, v91
	v_add_f16_e32 v15, v9, v1
	v_sub_f16_e32 v80, v8, v2
	v_fmamk_f16 v96, v82, 0xb574, v90
	v_add_f16_e32 v82, v52, v11
	v_sub_f16_e32 v11, v11, v52
	v_sub_f16_e32 v1, v1, v9
	v_pack_b32_f16 v15, v15, v80
	v_sub_f16_e32 v80, v10, v54
	v_add_f16_e32 v10, v54, v10
	v_add_f16_e32 v2, v2, v8
	ds_store_2addr_b32 v252, v105, v106 offset0:136 offset1:185
	v_sub_f16_e32 v9, v59, v51
	v_pack_b32_f16 v80, v80, v82
	scratch_load_b32 v82, off, off offset:404 th:TH_LOAD_LU ; 4-byte Folded Reload
	v_pack_b32_f16 v8, v10, v11
	v_pack_b32_f16 v1, v1, v2
	v_add_f16_e32 v10, v39, v50
	v_sub_f16_e32 v2, v81, v48
	v_sub_f16_e32 v11, v39, v50
	v_add_f16_e32 v50, v57, v55
	v_sub_f16_e32 v39, v53, v49
	v_fmamk_f16 v94, v83, 0x2b26, v86
	v_fmamk_f16 v95, v84, 0xb574, v92
	v_fmac_f16_e32 v96, 0xb70e, v89
	s_delay_alu instid0(VALU_DEP_3) | instskip(NEXT) | instid1(VALU_DEP_3)
	v_add_f16_e32 v94, v94, v87
	v_fmac_f16_e32 v95, 0xb70e, v91
	s_delay_alu instid0(VALU_DEP_2) | instskip(NEXT) | instid1(VALU_DEP_2)
	v_sub_f16_e32 v98, v94, v96
	v_add_f16_e32 v97, v95, v93
	s_delay_alu instid0(VALU_DEP_1)
	v_pack_b32_f16 v97, v97, v98
	scratch_load_b32 v98, off, off offset:400 th:TH_LOAD_LU ; 4-byte Folded Reload
	s_wait_loadcnt 0x1
	ds_store_2addr_b32 v82, v15, v80 offset0:16 offset1:65
	ds_store_2addr_b32 v82, v8, v1 offset0:114 offset1:163
	v_add_f16_e32 v1, v81, v48
	v_add_f16_e32 v8, v59, v51
	;; [unrolled: 1-line block ×4, first 2 shown]
	v_lshrrev_b32_e32 v53, 16, v12
	v_add_f16_e32 v52, v10, v1
	v_sub_f16_e32 v49, v56, v58
	v_add_f16_e32 v54, v15, v8
	v_sub_f16_e32 v51, v55, v57
	s_delay_alu instid0(VALU_DEP_4) | instskip(NEXT) | instid1(VALU_DEP_4)
	v_add_f16_e32 v52, v48, v52
	v_sub_f16_e32 v57, v49, v11
	s_delay_alu instid0(VALU_DEP_4) | instskip(NEXT) | instid1(VALU_DEP_4)
	v_add_f16_e32 v54, v50, v54
	v_add_f16_e32 v58, v51, v39
	v_sub_f16_e32 v59, v51, v39
	v_add_f16_e32 v12, v52, v12
	v_sub_f16_e32 v51, v9, v51
	v_add_f16_e32 v53, v54, v53
	v_add_f16_e32 v58, v58, v9
	v_mul_f16_e32 v57, 0x3846, v57
	v_and_b32_e32 v56, 0xffff, v12
	v_fmac_f16_e32 v12, 0xbcab, v52
	v_lshlrev_b32_e32 v55, 16, v53
	v_fmac_f16_e32 v53, 0xbcab, v54
	v_sub_f16_e32 v52, v1, v48
	v_sub_f16_e32 v48, v48, v10
	;; [unrolled: 1-line block ×3, first 2 shown]
	v_or_b32_e32 v55, v55, v56
	v_add_f16_e32 v56, v49, v11
	v_sub_f16_e32 v50, v50, v15
	v_sub_f16_e32 v49, v2, v49
	v_mul_f16_e32 v59, 0x3846, v59
	v_sub_f16_e32 v9, v39, v9
	v_add_f16_e32 v56, v56, v2
	v_sub_f16_e32 v2, v11, v2
	v_mul_f16_e32 v52, 0x3a52, v52
	v_mul_f16_e32 v54, 0x3a52, v54
	v_sub_f16_e32 v1, v10, v1
	v_sub_f16_e32 v8, v15, v8
	v_mul_f16_e32 v10, 0x2b26, v48
	v_mul_f16_e32 v11, 0x2b26, v50
	v_fma_f16 v15, v2, 0xbb00, -v57
	v_mul_f16_e32 v2, 0x3b00, v2
	v_fma_f16 v39, v9, 0xbb00, -v59
	;; [unrolled: 2-line block ×3, first 2 shown]
	v_fma_f16 v1, v1, 0xb9e0, -v52
	v_fma_f16 v11, v8, 0x39e0, -v11
	;; [unrolled: 1-line block ×3, first 2 shown]
	v_fmac_f16_e32 v2, 0x3574, v49
	v_fmac_f16_e32 v9, 0x3574, v51
	v_fmamk_f16 v80, v48, 0x2b26, v52
	v_add_f16_e32 v1, v1, v12
	v_add_f16_e32 v8, v8, v53
	v_fmac_f16_e32 v2, 0xb70e, v56
	v_fmac_f16_e32 v9, 0xb70e, v58
	v_add_f16_e32 v80, v80, v12
	v_add_f16_e32 v10, v10, v12
	;; [unrolled: 1-line block ×3, first 2 shown]
	v_fmac_f16_e32 v15, 0xb70e, v56
	v_fmac_f16_e32 v39, 0xb70e, v58
	v_add_f16_e32 v12, v9, v1
	v_sub_f16_e32 v48, v8, v2
	v_fmamk_f16 v83, v49, 0xb574, v57
	v_add_f16_e32 v49, v15, v11
	v_sub_f16_e32 v11, v11, v15
	v_sub_f16_e32 v1, v1, v9
	v_pack_b32_f16 v12, v12, v48
	v_sub_f16_e32 v48, v10, v39
	v_add_f16_e32 v10, v39, v10
	v_add_f16_e32 v2, v2, v8
	v_sub_f16_e32 v9, v34, v46
	v_sub_f16_e32 v15, v35, v45
	v_pack_b32_f16 v48, v48, v49
	v_pack_b32_f16 v8, v10, v11
	;; [unrolled: 1-line block ×3, first 2 shown]
	v_add_f16_e32 v10, v36, v44
	v_sub_f16_e32 v2, v29, v47
	ds_store_2addr_b32 v171, v12, v48 offset0:103 offset1:152
	v_add_f16_e32 v12, v35, v45
	ds_store_2addr_b32 v171, v8, v1 offset0:201 offset1:250
	v_add_f16_e32 v1, v29, v47
	v_add_f16_e32 v8, v34, v46
	v_sub_f16_e32 v11, v36, v44
	v_add_f16_e32 v29, v30, v38
	v_add_f16_e32 v34, v32, v37
	;; [unrolled: 1-line block ×4, first 2 shown]
	v_sub_f16_e32 v32, v37, v32
	v_lshrrev_b32_e32 v37, 16, v13
	v_sub_f16_e32 v30, v38, v30
	v_add_f16_e32 v35, v29, v35
	v_add_f16_e32 v36, v34, v36
	;; [unrolled: 1-line block ×3, first 2 shown]
	v_sub_f16_e32 v46, v32, v15
	v_sub_f16_e32 v44, v30, v11
	v_add_f16_e32 v13, v35, v13
	v_add_f16_e32 v37, v36, v37
	v_sub_f16_e32 v32, v9, v32
	v_add_f16_e32 v45, v45, v9
	v_mul_f16_e32 v44, 0x3846, v44
	v_and_b32_e32 v39, 0xffff, v13
	v_lshlrev_b32_e32 v38, 16, v37
	v_fmac_f16_e32 v13, 0xbcab, v35
	v_fmac_f16_e32 v37, 0xbcab, v36
	v_sub_f16_e32 v35, v1, v29
	v_sub_f16_e32 v29, v29, v10
	v_or_b32_e32 v38, v38, v39
	v_add_f16_e32 v39, v30, v11
	v_sub_f16_e32 v36, v8, v34
	v_sub_f16_e32 v34, v34, v12
	;; [unrolled: 1-line block ×3, first 2 shown]
	v_mul_f16_e32 v46, 0x3846, v46
	v_add_f16_e32 v39, v39, v2
	v_sub_f16_e32 v2, v11, v2
	v_sub_f16_e32 v9, v15, v9
	v_mul_f16_e32 v35, 0x3a52, v35
	v_mul_f16_e32 v36, 0x3a52, v36
	v_sub_f16_e32 v1, v10, v1
	v_sub_f16_e32 v8, v12, v8
	v_mul_f16_e32 v10, 0x2b26, v29
	v_mul_f16_e32 v11, 0x2b26, v34
	v_fma_f16 v12, v2, 0xbb00, -v44
	v_mul_f16_e32 v2, 0x3b00, v2
	v_fma_f16 v15, v9, 0xbb00, -v46
	;; [unrolled: 2-line block ×3, first 2 shown]
	v_fma_f16 v1, v1, 0xb9e0, -v35
	v_fma_f16 v11, v8, 0x39e0, -v11
	;; [unrolled: 1-line block ×3, first 2 shown]
	v_fmac_f16_e32 v2, 0x3574, v30
	v_fmac_f16_e32 v9, 0x3574, v32
	v_fmamk_f16 v81, v50, 0x2b26, v54
	v_fmamk_f16 v47, v29, 0x2b26, v35
	;; [unrolled: 1-line block ×5, first 2 shown]
	v_add_f16_e32 v1, v1, v13
	v_add_f16_e32 v8, v8, v37
	v_fmac_f16_e32 v2, 0xb70e, v39
	v_fmac_f16_e32 v9, 0xb70e, v45
	v_add_f16_e32 v47, v47, v13
	v_add_f16_e32 v48, v48, v37
	v_fmac_f16_e32 v49, 0xb70e, v45
	v_fmac_f16_e32 v50, 0xb70e, v39
	v_add_f16_e32 v10, v10, v13
	v_add_f16_e32 v13, v9, v1
	v_sub_f16_e32 v29, v8, v2
	v_sub_f16_e32 v1, v1, v9
	v_add_f16_e32 v2, v2, v8
	v_fmamk_f16 v82, v51, 0xb574, v59
	v_add_f16_e32 v51, v49, v47
	v_sub_f16_e32 v52, v48, v50
	v_add_f16_e32 v11, v11, v37
	v_pack_b32_f16 v1, v1, v2
	scratch_load_b32 v2, off, off offset:408 th:TH_LOAD_LU ; 4-byte Folded Reload
	v_fmac_f16_e32 v12, 0xb70e, v39
	v_pack_b32_f16 v51, v51, v52
	scratch_load_b32 v52, off, off offset:412 th:TH_LOAD_LU ; 4-byte Folded Reload
	v_fmac_f16_e32 v15, 0xb70e, v45
	v_pack_b32_f16 v13, v13, v29
	v_add_f16_e32 v30, v12, v11
	v_sub_f16_e32 v11, v11, v12
	v_add_f16_e32 v12, v21, v41
	v_sub_f16_e32 v29, v10, v15
	v_add_f16_e32 v10, v15, v10
	v_add_f16_e32 v15, v23, v20
	v_sub_f16_e32 v9, v25, v43
	v_add_f16_e32 v81, v81, v53
	v_pack_b32_f16 v29, v29, v30
	v_pack_b32_f16 v8, v10, v11
	v_add_f16_e32 v10, v19, v42
	v_sub_f16_e32 v11, v19, v42
	v_sub_f16_e32 v19, v20, v23
	v_add_f16_e32 v20, v22, v24
	v_lshrrev_b32_e32 v23, 16, v14
	v_fmac_f16_e32 v82, 0xb70e, v58
	v_fmac_f16_e32 v83, 0xb70e, v56
	s_wait_loadcnt 0x2
	ds_store_2addr_b32 v98, v88, v97 offset0:174 offset1:223
	v_lshrrev_b32_e32 v54, 16, v231
	v_lshrrev_b32_e32 v56, 16, v244
	v_add_f16_e32 v84, v82, v80
	v_sub_f16_e32 v85, v81, v83
	s_delay_alu instid0(VALU_DEP_1)
	v_pack_b32_f16 v84, v84, v85
	ds_store_2addr_b32 v171, v55, v84 offset0:5 offset1:54
	s_wait_loadcnt 0x1
	ds_store_2addr_b32 v2, v8, v1 offset0:32 offset1:81
	v_add_f16_e32 v1, v26, v40
	v_add_f16_e32 v8, v25, v43
	s_wait_loadcnt 0x0
	ds_store_2addr_b32 v52, v13, v29 offset0:190 offset1:239
	v_sub_f16_e32 v13, v21, v41
	v_sub_f16_e32 v21, v24, v22
	v_add_f16_e32 v22, v10, v1
	v_add_f16_e32 v24, v12, v8
	v_sub_f16_e32 v2, v26, v40
	v_sub_f16_e32 v29, v19, v11
	v_add_f16_e32 v30, v21, v13
	v_add_f16_e32 v22, v15, v22
	;; [unrolled: 1-line block ×3, first 2 shown]
	v_sub_f16_e32 v32, v21, v13
	v_sub_f16_e32 v21, v9, v21
	v_add_f16_e32 v30, v30, v9
	v_add_f16_e32 v14, v22, v14
	;; [unrolled: 1-line block ×3, first 2 shown]
	v_mul_f16_e32 v29, 0x3846, v29
	v_mul_f16_e32 v32, 0x3846, v32
	v_sub_f16_e32 v9, v13, v9
	v_and_b32_e32 v26, 0xffff, v14
	v_lshlrev_b32_e32 v25, 16, v23
	v_fmac_f16_e32 v14, 0xbcab, v22
	v_fmac_f16_e32 v23, 0xbcab, v24
	v_sub_f16_e32 v22, v1, v15
	v_sub_f16_e32 v15, v15, v10
	v_or_b32_e32 v25, v25, v26
	v_add_f16_e32 v26, v19, v11
	v_sub_f16_e32 v24, v8, v20
	v_sub_f16_e32 v20, v20, v12
	;; [unrolled: 1-line block ×3, first 2 shown]
	v_mul_f16_e32 v22, 0x3a52, v22
	v_add_f16_e32 v26, v26, v2
	v_sub_f16_e32 v2, v11, v2
	v_mul_f16_e32 v24, 0x3a52, v24
	v_sub_f16_e32 v1, v10, v1
	v_sub_f16_e32 v8, v12, v8
	v_mul_f16_e32 v10, 0x2b26, v15
	v_mul_f16_e32 v11, 0x2b26, v20
	v_fma_f16 v12, v2, 0xbb00, -v29
	v_mul_f16_e32 v2, 0x3b00, v2
	v_fma_f16 v13, v9, 0xbb00, -v32
	;; [unrolled: 2-line block ×3, first 2 shown]
	v_fma_f16 v1, v1, 0xb9e0, -v22
	v_fma_f16 v11, v8, 0x39e0, -v11
	;; [unrolled: 1-line block ×3, first 2 shown]
	v_fmac_f16_e32 v2, 0x3574, v19
	v_fmac_f16_e32 v9, 0x3574, v21
	v_fmamk_f16 v34, v15, 0x2b26, v22
	v_add_f16_e32 v1, v1, v14
	v_add_f16_e32 v8, v8, v23
	v_fmac_f16_e32 v2, 0xb70e, v26
	v_fmac_f16_e32 v9, 0xb70e, v30
	v_add_f16_e32 v34, v34, v14
	v_add_f16_e32 v10, v10, v14
	;; [unrolled: 1-line block ×3, first 2 shown]
	v_fmac_f16_e32 v12, 0xb70e, v26
	v_fmac_f16_e32 v13, 0xb70e, v30
	v_add_f16_e32 v14, v9, v1
	v_sub_f16_e32 v15, v8, v2
	v_fmamk_f16 v37, v19, 0xb574, v29
	v_add_f16_e32 v19, v12, v11
	v_sub_f16_e32 v11, v11, v12
	v_sub_f16_e32 v1, v1, v9
	v_pack_b32_f16 v14, v14, v15
	v_sub_f16_e32 v15, v10, v13
	v_add_f16_e32 v10, v13, v10
	v_add_f16_e32 v2, v2, v8
	;; [unrolled: 1-line block ×4, first 2 shown]
	v_pack_b32_f16 v15, v15, v19
	scratch_load_b32 v19, off, off offset:420 th:TH_LOAD_LU ; 4-byte Folded Reload
	v_pack_b32_f16 v8, v10, v11
	v_pack_b32_f16 v1, v1, v2
	v_sub_f16_e32 v2, v3, v31
	v_add_f16_e32 v10, v7, v28
	v_add_f16_e32 v11, v5, v18
	v_sub_f16_e32 v4, v4, v27
	v_sub_f16_e32 v5, v18, v5
	v_sub_f16_e32 v6, v17, v6
	v_sub_f16_e32 v7, v7, v28
	v_fmamk_f16 v35, v20, 0x2b26, v24
	v_fmamk_f16 v36, v21, 0xb574, v32
	v_sub_f16_e32 v18, v5, v4
	v_fmac_f16_e32 v37, 0xb70e, v26
	v_sub_f16_e32 v20, v6, v7
	v_add_f16_e32 v35, v35, v23
	v_fmac_f16_e32 v36, 0xb70e, v30
	v_mul_f16_e32 v18, 0x3846, v18
	ds_store_2addr_b32 v52, v38, v51 offset0:92 offset1:141
	v_mul_f16_e32 v20, 0x3846, v20
	v_sub_f16_e32 v39, v35, v37
	v_add_f16_e32 v38, v36, v34
	v_lshrrev_b32_e32 v52, 16, v230
	s_delay_alu instid0(VALU_DEP_2)
	v_pack_b32_f16 v38, v38, v39
	scratch_load_b32 v39, off, off offset:416 th:TH_LOAD_LU ; 4-byte Folded Reload
	s_wait_loadcnt 0x1
	ds_store_2addr_b32 v19, v8, v1 offset0:119 offset1:168
	v_add_f16_e32 v1, v3, v31
	v_add_f16_e32 v3, v16, v33
	ds_store_2addr_b32 v19, v14, v15 offset0:21 offset1:70
	v_lshrrev_b32_e32 v14, 16, v0
	v_sub_f16_e32 v8, v16, v33
	v_add_f16_e32 v13, v9, v1
	v_add_f16_e32 v15, v10, v3
	;; [unrolled: 1-line block ×3, first 2 shown]
	s_delay_alu instid0(VALU_DEP_4) | instskip(NEXT) | instid1(VALU_DEP_4)
	v_sub_f16_e32 v6, v8, v6
	v_add_f16_e32 v13, v11, v13
	s_delay_alu instid0(VALU_DEP_4) | instskip(NEXT) | instid1(VALU_DEP_4)
	v_add_f16_e32 v15, v12, v15
	v_add_f16_e32 v19, v19, v8
	s_delay_alu instid0(VALU_DEP_4) | instskip(NEXT) | instid1(VALU_DEP_4)
	v_fmamk_f16 v23, v6, 0xb574, v20
	v_add_f16_e32 v0, v13, v0
	s_delay_alu instid0(VALU_DEP_4) | instskip(NEXT) | instid1(VALU_DEP_3)
	v_add_f16_e32 v14, v15, v14
	v_fmac_f16_e32 v23, 0xb70e, v19
	s_delay_alu instid0(VALU_DEP_3) | instskip(NEXT) | instid1(VALU_DEP_3)
	v_and_b32_e32 v17, 0xffff, v0
	v_lshlrev_b32_e32 v16, 16, v14
	v_fmac_f16_e32 v0, 0xbcab, v13
	v_fmac_f16_e32 v14, 0xbcab, v15
	v_sub_f16_e32 v13, v1, v11
	v_sub_f16_e32 v11, v11, v9
	v_or_b32_e32 v16, v16, v17
	v_add_f16_e32 v17, v5, v4
	v_sub_f16_e32 v5, v2, v5
	v_sub_f16_e32 v15, v3, v12
	;; [unrolled: 1-line block ×4, first 2 shown]
	v_add_f16_e32 v17, v17, v2
	v_sub_f16_e32 v2, v4, v2
	v_sub_f16_e32 v4, v7, v8
	v_mul_f16_e32 v13, 0x3a52, v13
	v_mul_f16_e32 v15, 0x3a52, v15
	v_fmamk_f16 v24, v5, 0xb574, v18
	v_fma_f16 v9, v2, 0xbb00, -v18
	v_mul_f16_e32 v2, 0x3b00, v2
	v_sub_f16_e32 v3, v10, v3
	v_mul_f16_e32 v7, 0x2b26, v11
	v_mul_f16_e32 v8, 0x2b26, v12
	v_fmamk_f16 v21, v11, 0x2b26, v13
	v_fmac_f16_e32 v2, 0x3574, v5
	v_fma_f16 v5, v4, 0xbb00, -v20
	v_mul_f16_e32 v4, 0x3b00, v4
	v_fma_f16 v7, v1, 0x39e0, -v7
	v_fma_f16 v1, v1, 0xb9e0, -v13
	v_fma_f16 v8, v3, 0x39e0, -v8
	v_fma_f16 v3, v3, 0xb9e0, -v15
	v_fmac_f16_e32 v4, 0x3574, v6
	v_add_f16_e32 v21, v21, v0
	v_add_f16_e32 v6, v7, v0
	;; [unrolled: 1-line block ×4, first 2 shown]
	v_fmac_f16_e32 v2, 0xb70e, v17
	v_fmac_f16_e32 v4, 0xb70e, v19
	v_add_f16_e32 v1, v8, v14
	v_fmac_f16_e32 v9, 0xb70e, v17
	v_fmac_f16_e32 v5, 0xb70e, v19
	v_sub_f16_e32 v8, v3, v2
	v_add_f16_e32 v7, v4, v0
	v_sub_f16_e32 v0, v0, v4
	v_add_f16_e32 v10, v9, v1
	v_sub_f16_e32 v1, v1, v9
	v_add_f16_e32 v2, v2, v3
	v_pack_b32_f16 v7, v7, v8
	v_sub_f16_e32 v8, v6, v5
	v_add_f16_e32 v5, v5, v6
	v_add_f16_e32 v3, v83, v81
	v_pack_b32_f16 v0, v0, v2
	v_sub_f16_e32 v2, v80, v82
	v_fmamk_f16 v22, v12, 0x2b26, v15
	v_pack_b32_f16 v1, v5, v1
	v_fmac_f16_e32 v24, 0xb70e, v17
	s_wait_loadcnt 0x0
	ds_store_2addr_b32 v39, v25, v38 offset0:179 offset1:228
	v_add_f16_e32 v25, v23, v21
	v_add_f16_e32 v22, v22, v14
	ds_store_2addr_b32 v182, v1, v0 offset0:206 offset1:255
	v_sub_f16_e32 v0, v93, v95
	v_add_f16_e32 v1, v96, v94
	v_pack_b32_f16 v8, v8, v10
	v_sub_f16_e32 v26, v22, v24
	v_lshrrev_b32_e32 v4, 16, v219
	v_lshrrev_b32_e32 v6, 16, v220
	v_pack_b32_f16 v0, v0, v1
	v_pack_b32_f16 v1, v2, v3
	scratch_load_b32 v2, off, off offset:440 th:TH_LOAD_LU ; 4-byte Folded Reload
	v_pack_b32_f16 v25, v25, v26
	ds_store_2addr_b32 v182, v7, v8 offset0:108 offset1:157
	v_lshrrev_b32_e32 v8, 16, v222
	v_lshrrev_b32_e32 v9, 16, v107
	ds_store_2addr_b32 v182, v16, v25 offset0:10 offset1:59
	s_wait_loadcnt 0x0
	ds_store_b32 v2, v0 offset:3920
	v_sub_f16_e32 v0, v47, v49
	v_add_f16_e32 v2, v50, v48
	s_delay_alu instid0(VALU_DEP_1)
	v_pack_b32_f16 v0, v0, v2
	scratch_load_b32 v2, off, off offset:436 th:TH_LOAD_LU ; 4-byte Folded Reload
	s_wait_loadcnt 0x0
	ds_store_b32 v2, v1 offset:5292
	v_sub_f16_e32 v1, v34, v36
	v_add_f16_e32 v2, v37, v35
	s_delay_alu instid0(VALU_DEP_1)
	v_pack_b32_f16 v1, v1, v2
	scratch_load_b32 v2, off, off offset:432 th:TH_LOAD_LU ; 4-byte Folded Reload
	;; [unrolled: 7-line block ×3, first 2 shown]
	s_wait_loadcnt 0x0
	ds_store_b32 v2, v1 offset:8036
	scratch_load_b32 v1, off, off offset:428 th:TH_LOAD_LU ; 4-byte Folded Reload
	s_wait_loadcnt 0x0
	ds_store_b32 v1, v0 offset:9408
	global_wb scope:SCOPE_SE
	s_wait_dscnt 0x0
	s_barrier_signal -1
	s_barrier_wait -1
	global_inv scope:SCOPE_SE
	ds_load_2addr_b32 v[0:1], v252 offset0:38 offset1:87
	ds_load_2addr_b32 v[14:15], v170 offset0:84 offset1:133
	;; [unrolled: 1-line block ×3, first 2 shown]
	s_wait_dscnt 0x2
	v_lshrrev_b32_e32 v2, 16, v1
	v_mul_f16_e32 v3, v4, v1
	s_wait_dscnt 0x0
	v_lshrrev_b32_e32 v20, 16, v17
	v_mul_f16_e64 v21, v239, v17
	v_mul_f16_e32 v80, v4, v2
	v_fma_f16 v81, v219, v2, -v3
	ds_load_2addr_b32 v[2:3], v181 offset0:174 offset1:223
	v_fmac_f16_e64 v80, v219, v1
	v_lshrrev_b32_e32 v1, 16, v108
	s_wait_dscnt 0x0
	v_lshrrev_b32_e32 v4, 16, v2
	v_mul_f16_e32 v5, v6, v2
	s_delay_alu instid0(VALU_DEP_2) | instskip(SKIP_1) | instid1(VALU_DEP_3)
	v_mul_f16_e32 v82, v6, v4
	v_lshrrev_b32_e32 v6, 16, v221
	v_fma_f16 v83, v220, v4, -v5
	v_lshrrev_b32_e32 v4, 16, v15
	s_delay_alu instid0(VALU_DEP_4) | instskip(NEXT) | instid1(VALU_DEP_4)
	v_fmac_f16_e64 v82, v220, v2
	v_mul_f16_e32 v5, v6, v15
	s_delay_alu instid0(VALU_DEP_3) | instskip(NEXT) | instid1(VALU_DEP_2)
	v_mul_f16_e32 v84, v6, v4
	v_fma_f16 v85, v221, v4, -v5
	ds_load_2addr_b32 v[4:5], v223 offset0:92 offset1:141
	v_fmac_f16_e64 v84, v221, v15
	s_wait_dscnt 0x0
	v_lshrrev_b32_e32 v6, 16, v4
	v_mul_f16_e32 v7, v8, v4
	s_delay_alu instid0(VALU_DEP_2) | instskip(NEXT) | instid1(VALU_DEP_2)
	v_mul_f16_e32 v86, v8, v6
	v_fma_f16 v87, v222, v6, -v7
	v_lshrrev_b32_e32 v6, 16, v5
	s_delay_alu instid0(VALU_DEP_3) | instskip(SKIP_1) | instid1(VALU_DEP_1)
	v_fmac_f16_e64 v86, v222, v4
	v_lshrrev_b32_e32 v4, 16, v3
	v_mul_f16_e32 v22, v1, v4
	s_delay_alu instid0(VALU_DEP_1) | instskip(SKIP_2) | instid1(VALU_DEP_2)
	v_fmac_f16_e32 v22, v108, v3
	v_mul_f16_e32 v3, v1, v3
	v_lshrrev_b32_e32 v1, 16, v110
	v_fma_f16 v32, v108, v4, -v3
	s_delay_alu instid0(VALU_DEP_2)
	v_mul_f16_e32 v30, v1, v6
	ds_load_2addr_b32 v[3:4], v208 offset0:54 offset1:103
	v_fmac_f16_e32 v30, v110, v5
	v_mul_f16_e32 v5, v1, v5
	ds_load_2addr_b32 v[1:2], v252 offset0:136 offset1:185
	v_fma_f16 v40, v110, v6, -v5
	v_lshrrev_b32_e32 v5, 16, v62
	s_wait_dscnt 0x0
	v_lshrrev_b32_e32 v7, 16, v1
	v_mul_f16_e32 v8, v9, v1
	s_delay_alu instid0(VALU_DEP_2) | instskip(NEXT) | instid1(VALU_DEP_2)
	v_mul_f16_e32 v34, v9, v7
	v_fma_f16 v35, v107, v7, -v8
	v_lshrrev_b32_e32 v7, 16, v3
	v_lshrrev_b32_e32 v9, 16, v109
	s_delay_alu instid0(VALU_DEP_4) | instskip(SKIP_1) | instid1(VALU_DEP_3)
	v_fmac_f16_e32 v34, v107, v1
	v_lshrrev_b32_e32 v1, 16, v2
	v_mul_f16_e32 v37, v9, v7
	v_mul_f16_e32 v8, v9, v3
	s_delay_alu instid0(VALU_DEP_2) | instskip(SKIP_1) | instid1(VALU_DEP_3)
	v_fmac_f16_e32 v37, v109, v3
	v_lshrrev_b32_e32 v3, 16, v60
	v_fma_f16 v38, v109, v7, -v8
	v_lshrrev_b32_e32 v7, 16, v61
	s_delay_alu instid0(VALU_DEP_3) | instskip(NEXT) | instid1(VALU_DEP_1)
	v_mul_f16_e32 v44, v3, v1
	v_fmac_f16_e32 v44, v60, v2
	v_mul_f16_e32 v2, v3, v2
	v_lshrrev_b32_e32 v3, 16, v4
	s_delay_alu instid0(VALU_DEP_2) | instskip(NEXT) | instid1(VALU_DEP_2)
	v_fma_f16 v47, v60, v1, -v2
	v_mul_f16_e32 v45, v5, v3
	ds_load_2addr_b32 v[1:2], v195 offset0:16 offset1:65
	v_fmac_f16_e32 v45, v62, v4
	v_mul_f16_e32 v4, v5, v4
	s_delay_alu instid0(VALU_DEP_1) | instskip(SKIP_4) | instid1(VALU_DEP_2)
	v_fma_f16 v46, v62, v3, -v4
	ds_load_2addr_b32 v[3:4], v223 offset0:190 offset1:239
	s_wait_dscnt 0x1
	v_lshrrev_b32_e32 v5, 16, v1
	v_mul_f16_e32 v6, v7, v1
	v_mul_f16_e32 v49, v7, v5
	s_delay_alu instid0(VALU_DEP_2) | instskip(SKIP_1) | instid1(VALU_DEP_3)
	v_fma_f16 v48, v61, v5, -v6
	v_lshrrev_b32_e32 v7, 16, v63
	v_fmac_f16_e32 v49, v61, v1
	s_wait_dscnt 0x0
	v_lshrrev_b32_e32 v5, 16, v3
	s_delay_alu instid0(VALU_DEP_3) | instskip(NEXT) | instid1(VALU_DEP_2)
	v_mul_f16_e32 v6, v7, v3
	v_mul_f16_e32 v51, v7, v5
	s_delay_alu instid0(VALU_DEP_2)
	v_fma_f16 v50, v63, v5, -v6
	v_mul_f16_e64 v5, v224, v2
	v_lshrrev_b32_e32 v6, 16, v4
	v_mul_f16_e64 v7, v226, v4
	v_fmac_f16_e32 v51, v63, v3
	v_lshrrev_b32_e32 v3, 16, v2
	s_delay_alu instid0(VALU_DEP_4) | instskip(NEXT) | instid1(VALU_DEP_4)
	v_mul_f16_e64 v19, v226, v6
	v_fma_f16 v26, v67, v6, -v7
	s_delay_alu instid0(VALU_DEP_3) | instskip(SKIP_1) | instid1(VALU_DEP_4)
	v_mul_f16_e64 v15, v224, v3
	v_fma_f16 v23, v65, v3, -v5
	v_fmac_f16_e32 v19, v67, v4
	s_delay_alu instid0(VALU_DEP_3) | instskip(SKIP_4) | instid1(VALU_DEP_2)
	v_fmac_f16_e32 v15, v65, v2
	ds_load_2addr_b32 v[1:2], v217 offset0:106 offset1:155
	s_wait_dscnt 0x0
	v_lshrrev_b32_e32 v4, 16, v1
	v_mul_f16_e64 v8, v211, v1
	v_mul_f16_e64 v29, v211, v4
	s_delay_alu instid0(VALU_DEP_2) | instskip(SKIP_3) | instid1(VALU_DEP_1)
	v_fma_f16 v27, v64, v4, -v8
	ds_load_2addr_b32 v[3:4], v208 offset0:152 offset1:201
	v_fmac_f16_e32 v29, v64, v1
	v_lshrrev_b32_e32 v1, 16, v2
	v_mul_f16_e64 v28, v203, v1
	s_delay_alu instid0(VALU_DEP_1) | instskip(SKIP_1) | instid1(VALU_DEP_1)
	v_fmac_f16_e32 v28, v68, v2
	v_mul_f16_e64 v2, v203, v2
	v_fma_f16 v36, v68, v1, -v2
	ds_load_2addr_b32 v[1:2], v195 offset0:114 offset1:163
	s_wait_dscnt 0x1
	v_lshrrev_b32_e32 v5, 16, v3
	v_mul_f16_e64 v8, v207, v3
	s_delay_alu instid0(VALU_DEP_2) | instskip(NEXT) | instid1(VALU_DEP_2)
	v_mul_f16_e64 v25, v207, v5
	v_fma_f16 v24, v66, v5, -v8
	s_delay_alu instid0(VALU_DEP_2) | instskip(SKIP_1) | instid1(VALU_DEP_1)
	v_fmac_f16_e32 v25, v66, v3
	v_lshrrev_b32_e32 v3, 16, v4
	v_mul_f16_e64 v31, v204, v3
	s_wait_dscnt 0x0
	v_lshrrev_b32_e32 v5, 16, v1
	v_mul_f16_e64 v6, v202, v1
	s_delay_alu instid0(VALU_DEP_3)
	v_fmac_f16_e32 v31, v70, v4
	v_mul_f16_e64 v4, v204, v4
	v_mul_f16_e64 v7, v173, v2
	;; [unrolled: 1-line block ×3, first 2 shown]
	v_fma_f16 v39, v69, v5, -v6
	ds_load_2addr_b32 v[5:6], v194 offset0:32 offset1:81
	v_fma_f16 v33, v70, v3, -v4
	v_fmac_f16_e32 v41, v69, v1
	s_wait_dscnt 0x0
	v_lshrrev_b32_e32 v3, 16, v5
	v_mul_f16_e64 v4, v200, v5
	v_lshrrev_b32_e32 v9, 16, v6
	v_mul_f16_e64 v11, v175, v6
	s_delay_alu instid0(VALU_DEP_4) | instskip(NEXT) | instid1(VALU_DEP_4)
	v_mul_f16_e64 v43, v200, v3
	v_fma_f16 v42, v71, v3, -v4
	v_lshrrev_b32_e32 v3, 16, v2
	s_delay_alu instid0(VALU_DEP_3) | instskip(SKIP_1) | instid1(VALU_DEP_3)
	v_fmac_f16_e32 v43, v71, v5
	v_mul_f16_e64 v5, v175, v9
	v_mul_f16_e64 v4, v173, v3
	v_fma_f16 v9, v75, v9, -v11
	v_add_f16_e32 v106, v33, v42
	v_add_f16_e32 v104, v31, v43
	v_fmac_f16_e32 v5, v75, v6
	v_fmac_f16_e32 v4, v73, v2
	ds_load_2addr_b32 v[1:2], v181 offset0:76 offset1:125
	v_sub_f16_e32 v103, v43, v31
	v_sub_f16_e32 v105, v42, v33
	s_wait_dscnt 0x0
	v_lshrrev_b32_e32 v6, 16, v1
	v_mul_f16_e64 v8, v241, v1
	s_delay_alu instid0(VALU_DEP_2) | instskip(NEXT) | instid1(VALU_DEP_2)
	v_mul_f16_e64 v12, v241, v6
	v_fma_f16 v10, v72, v6, -v8
	v_lshrrev_b32_e32 v8, 16, v74
	v_fma_f16 v6, v73, v3, -v7
	v_lshrrev_b32_e32 v3, 16, v16
	v_fmac_f16_e32 v12, v72, v1
	v_lshrrev_b32_e32 v1, 16, v2
	v_mul_f16_e32 v7, v8, v16
	s_delay_alu instid0(VALU_DEP_4) | instskip(NEXT) | instid1(VALU_DEP_3)
	v_mul_f16_e32 v8, v8, v3
	v_mul_f16_e64 v11, v205, v1
	s_delay_alu instid0(VALU_DEP_3) | instskip(SKIP_1) | instid1(VALU_DEP_4)
	v_fma_f16 v7, v74, v3, -v7
	v_lshrrev_b32_e32 v3, 16, v14
	v_fmac_f16_e32 v8, v74, v16
	v_mul_f16_e64 v16, v172, v14
	v_fmac_f16_e32 v11, v76, v2
	v_mul_f16_e64 v2, v205, v2
	v_mul_f16_e64 v13, v172, v3
	v_sub_f16_e64 v133, v5, v8
	v_add_f16_e64 v135, v7, v9
	v_sub_f16_e32 v9, v9, v7
	v_fma_f16 v18, v76, v1, -v2
	ds_load_2addr_b32 v[1:2], v194 offset0:130 offset1:179
	v_fmac_f16_e32 v13, v77, v14
	v_mul_f16_e64 v14, v239, v20
	s_delay_alu instid0(VALU_DEP_1)
	v_fmac_f16_e32 v14, v78, v17
	v_fma_f16 v17, v77, v3, -v16
	v_fma_f16 v16, v78, v20, -v21
	v_lshrrev_b32_e32 v20, 16, v79
	s_wait_dscnt 0x0
	v_lshrrev_b32_e32 v3, 16, v1
	s_delay_alu instid0(VALU_DEP_2) | instskip(NEXT) | instid1(VALU_DEP_2)
	v_mul_f16_e32 v21, v20, v1
	v_mul_f16_e32 v20, v20, v3
	s_delay_alu instid0(VALU_DEP_2) | instskip(NEXT) | instid1(VALU_DEP_2)
	v_fma_f16 v21, v79, v3, -v21
	v_fmac_f16_e32 v20, v79, v1
	v_lshrrev_b32_e32 v1, 16, v2
	s_delay_alu instid0(VALU_DEP_3) | instskip(SKIP_1) | instid1(VALU_DEP_4)
	v_add_f16_e64 v138, v16, v21
	v_sub_f16_e64 v142, v21, v16
	v_sub_f16_e64 v139, v20, v14
	s_delay_alu instid0(VALU_DEP_4) | instskip(SKIP_1) | instid1(VALU_DEP_2)
	v_mul_f16_e32 v3, v52, v1
	v_mul_f16_e32 v52, v52, v2
	v_fmac_f16_e64 v3, v230, v2
	s_delay_alu instid0(VALU_DEP_2) | instskip(SKIP_4) | instid1(VALU_DEP_1)
	v_fma_f16 v76, v230, v1, -v52
	ds_load_2addr_b32 v[1:2], v187 offset0:10 offset1:59
	v_add_f16_e32 v79, v82, v3
	v_sub_f16_e32 v3, v82, v3
	v_sub_f16_e32 v82, v86, v84
	;; [unrolled: 1-line block ×3, first 2 shown]
	s_wait_dscnt 0x0
	v_lshrrev_b32_e32 v52, 16, v1
	v_mul_f16_e32 v53, v54, v1
	s_delay_alu instid0(VALU_DEP_2) | instskip(NEXT) | instid1(VALU_DEP_2)
	v_mul_f16_e32 v77, v54, v52
	v_fma_f16 v78, v231, v52, -v53
	v_lshrrev_b32_e32 v52, 16, v2
	s_delay_alu instid0(VALU_DEP_3) | instskip(SKIP_1) | instid1(VALU_DEP_1)
	v_fmac_f16_e64 v77, v231, v1
	v_lshrrev_b32_e32 v1, 16, v245
	v_mul_f16_e32 v68, v1, v52
	v_mul_f16_e32 v53, v1, v2
	s_delay_alu instid0(VALU_DEP_2)
	v_fmac_f16_e64 v68, v245, v2
	ds_load_2addr_b32 v[1:2], v246 offset0:100 offset1:149
	v_fma_f16 v73, v245, v52, -v53
	v_lshrrev_b32_e32 v52, 16, v111
	s_wait_dscnt 0x0
	v_lshrrev_b32_e32 v54, 16, v1
	v_mul_f16_e32 v55, v56, v1
	s_delay_alu instid0(VALU_DEP_2) | instskip(NEXT) | instid1(VALU_DEP_2)
	v_mul_f16_e32 v70, v56, v54
	v_fma_f16 v71, v244, v54, -v55
	v_lshrrev_b32_e32 v54, 16, v112
	v_lshrrev_b32_e32 v56, 16, v113
	s_delay_alu instid0(VALU_DEP_4) | instskip(SKIP_1) | instid1(VALU_DEP_1)
	v_fmac_f16_e64 v70, v244, v1
	v_lshrrev_b32_e32 v1, 16, v2
	v_mul_f16_e32 v69, v52, v1
	v_mul_f16_e32 v52, v52, v2
	s_delay_alu instid0(VALU_DEP_2) | instskip(NEXT) | instid1(VALU_DEP_2)
	v_fmac_f16_e32 v69, v111, v2
	v_fma_f16 v72, v111, v1, -v52
	ds_load_2addr_b32 v[1:2], v187 offset0:108 offset1:157
	s_wait_dscnt 0x0
	v_lshrrev_b32_e32 v52, 16, v1
	v_mul_f16_e32 v53, v54, v1
	s_delay_alu instid0(VALU_DEP_2) | instskip(NEXT) | instid1(VALU_DEP_2)
	v_mul_f16_e32 v74, v54, v52
	v_fma_f16 v75, v112, v52, -v53
	v_lshrrev_b32_e32 v52, 16, v2
	s_delay_alu instid0(VALU_DEP_3) | instskip(SKIP_1) | instid1(VALU_DEP_1)
	v_fmac_f16_e32 v74, v112, v1
	v_lshrrev_b32_e32 v1, 16, v114
	v_mul_f16_e32 v62, v1, v52
	v_mul_f16_e32 v53, v1, v2
	s_delay_alu instid0(VALU_DEP_2)
	v_fmac_f16_e32 v62, v114, v2
	ds_load_2addr_b32 v[1:2], v169 offset0:70 offset1:119
	v_fma_f16 v67, v114, v52, -v53
	v_lshrrev_b32_e32 v52, 16, v115
	s_wait_dscnt 0x0
	v_lshrrev_b32_e32 v54, 16, v1
	v_mul_f16_e32 v55, v56, v1
	s_delay_alu instid0(VALU_DEP_2) | instskip(NEXT) | instid1(VALU_DEP_2)
	v_mul_f16_e32 v66, v56, v54
	v_fma_f16 v65, v113, v54, -v55
	v_lshrrev_b32_e32 v54, 16, v116
	s_delay_alu instid0(VALU_DEP_3) | instskip(SKIP_1) | instid1(VALU_DEP_4)
	v_fmac_f16_e32 v66, v113, v1
	v_lshrrev_b32_e32 v1, 16, v2
	v_add_f16_e32 v112, v23, v65
	v_sub_f16_e32 v113, v23, v65
	v_sub_f16_e32 v65, v19, v25
	v_add_f16_e32 v109, v15, v66
	v_mul_f16_e32 v60, v52, v1
	v_mul_f16_e32 v52, v52, v2
	v_sub_f16_e32 v110, v15, v66
	v_add_f16_e32 v66, v25, v19
	s_delay_alu instid0(VALU_DEP_4) | instskip(NEXT) | instid1(VALU_DEP_4)
	v_fmac_f16_e32 v60, v115, v2
	v_fma_f16 v61, v115, v1, -v52
	ds_load_2addr_b32 v[1:2], v187 offset0:206 offset1:255
	v_sub_f16_e32 v111, v66, v109
	v_sub_f16_e32 v31, v65, v110
	v_add_f16_e32 v114, v41, v60
	v_sub_f16_e32 v115, v41, v60
	s_delay_alu instid0(VALU_DEP_3) | instskip(NEXT) | instid1(VALU_DEP_3)
	v_mul_f16_e32 v126, 0x3846, v31
	v_sub_f16_e64 v130, v104, v114
	s_wait_dscnt 0x0
	v_lshrrev_b32_e32 v52, 16, v1
	v_mul_f16_e32 v53, v54, v1
	s_delay_alu instid0(VALU_DEP_2) | instskip(NEXT) | instid1(VALU_DEP_2)
	v_mul_f16_e32 v63, v54, v52
	v_fma_f16 v64, v116, v52, -v53
	v_lshrrev_b32_e32 v52, 16, v2
	v_mul_f16_e64 v53, v199, v2
	s_delay_alu instid0(VALU_DEP_4) | instskip(NEXT) | instid1(VALU_DEP_4)
	v_fmac_f16_e32 v63, v116, v1
	v_add_f16_e32 v100, v36, v64
	s_delay_alu instid0(VALU_DEP_4) | instskip(NEXT) | instid1(VALU_DEP_4)
	v_mul_f16_e64 v54, v199, v52
	v_fma_f16 v59, v118, v52, -v53
	v_add_f16_e32 v116, v39, v61
	v_sub_f16_e32 v64, v36, v64
	s_delay_alu instid0(VALU_DEP_4) | instskip(SKIP_4) | instid1(VALU_DEP_3)
	v_fmac_f16_e32 v54, v118, v2
	ds_load_2addr_b32 v[1:2], v169 offset0:168 offset1:217
	v_sub_f16_e32 v118, v39, v61
	v_mul_f16_e32 v39, 0x2b26, v111
	v_sub_f16_e64 v132, v106, v116
	v_sub_f16_e32 v122, v118, v64
	s_wait_dscnt 0x0
	v_lshrrev_b32_e32 v56, 16, v1
	v_mul_f16_e64 v57, v191, v1
	v_mul_f16_e64 v53, v178, v2
	s_delay_alu instid0(VALU_DEP_3) | instskip(NEXT) | instid1(VALU_DEP_3)
	v_mul_f16_e64 v55, v191, v56
	v_fma_f16 v56, v117, v56, -v57
	s_delay_alu instid0(VALU_DEP_2) | instskip(SKIP_1) | instid1(VALU_DEP_1)
	v_fmac_f16_e32 v55, v117, v1
	v_lshrrev_b32_e32 v1, 16, v2
	v_mul_f16_e64 v52, v178, v1
	v_fma_f16 v53, v119, v1, -v53
	ds_load_b32 v1, v152 offset:9408
	v_fmac_f16_e32 v52, v119, v2
	v_sub_f16_e32 v119, v116, v100
	s_delay_alu instid0(VALU_DEP_2) | instskip(NEXT) | instid1(VALU_DEP_1)
	v_sub_f16_e64 v128, v13, v52
	v_sub_f16_e64 v153, v139, v128
	s_wait_dscnt 0x0
	v_lshrrev_b32_e32 v2, 16, v1
	v_mul_f16_e64 v58, v179, v1
	s_delay_alu instid0(VALU_DEP_2) | instskip(NEXT) | instid1(VALU_DEP_2)
	v_mul_f16_e64 v57, v179, v2
	v_fma_f16 v58, v120, v2, -v58
	v_sub_f16_e32 v2, v80, v77
	s_delay_alu instid0(VALU_DEP_3)
	v_fmac_f16_e32 v57, v120, v1
	v_add_f16_e32 v1, v80, v77
	v_add_f16_e32 v77, v81, v78
	v_sub_f16_e32 v78, v81, v78
	v_add_f16_e32 v80, v83, v76
	v_sub_f16_e32 v76, v83, v76
	v_add_f16_e32 v81, v84, v86
	v_add_f16_e32 v83, v85, v87
	v_sub_f16_e32 v84, v87, v85
	v_add_f16_e32 v85, v79, v1
	v_sub_f16_e32 v86, v79, v1
	v_sub_f16_e32 v1, v1, v81
	;; [unrolled: 1-line block ×3, first 2 shown]
	v_add_f16_e32 v79, v80, v77
	v_add_f16_e32 v81, v81, v85
	v_sub_f16_e32 v85, v80, v77
	v_sub_f16_e32 v88, v77, v83
	v_add_f16_e32 v77, v82, v3
	v_sub_f16_e32 v82, v2, v82
	v_sub_f16_e32 v3, v3, v2
	;; [unrolled: 1-line block ×4, first 2 shown]
	v_add_f16_e32 v2, v77, v2
	v_add_f16_e32 v77, v84, v76
	v_sub_f16_e32 v84, v78, v84
	v_sub_f16_e32 v76, v76, v78
	v_add_f16_e32 v83, v83, v79
	v_mul_f16_e32 v1, 0x3a52, v1
	v_add_f16_e32 v91, v77, v78
	ds_load_2addr_b32 v[77:78], v152 offset1:49
	v_sub_f16_e32 v127, v11, v57
	s_delay_alu instid0(VALU_DEP_1) | instskip(SKIP_3) | instid1(VALU_DEP_2)
	v_sub_f16_e64 v150, v127, v139
	s_wait_dscnt 0x0
	v_lshrrev_b32_e32 v79, 16, v77
	v_add_f16_e32 v77, v81, v77
	v_add_f16_e32 v92, v83, v79
	s_delay_alu instid0(VALU_DEP_2) | instskip(SKIP_2) | instid1(VALU_DEP_4)
	v_and_b32_e32 v93, 0xffff, v77
	v_fmac_f16_e32 v77, 0xbcab, v81
	v_mul_f16_e32 v81, 0x2b26, v87
	v_lshlrev_b32_e32 v79, 16, v92
	v_fmac_f16_e32 v92, 0xbcab, v83
	v_fmamk_f16 v83, v87, 0x2b26, v1
	s_delay_alu instid0(VALU_DEP_4)
	v_fma_f16 v81, v86, 0x39e0, -v81
	v_fma_f16 v1, v86, 0xb9e0, -v1
	v_mul_f16_e32 v86, 0x3a52, v88
	v_mul_f16_e32 v87, 0x2b26, v80
	;; [unrolled: 1-line block ×3, first 2 shown]
	v_or_b32_e32 v79, v79, v93
	v_add_f16_e32 v94, v83, v77
	v_fmamk_f16 v80, v80, 0x2b26, v86
	v_fma_f16 v87, v85, 0x39e0, -v87
	v_fma_f16 v85, v85, 0xb9e0, -v86
	v_mul_f16_e32 v86, 0x3846, v89
	v_fmac_f16_e32 v88, 0x3574, v82
	v_add_f16_e32 v81, v81, v77
	v_add_f16_e32 v1, v1, v77
	;; [unrolled: 1-line block ×3, first 2 shown]
	v_fma_f16 v3, v3, 0xbb00, -v86
	v_fmamk_f16 v93, v82, 0xb574, v86
	v_mul_f16_e32 v82, 0x3846, v90
	v_mul_f16_e32 v86, 0x3b00, v76
	v_add_f16_e32 v87, v85, v92
	v_fmac_f16_e32 v88, 0xb70e, v2
	v_add_f16_e32 v95, v80, v92
	v_fma_f16 v76, v76, 0xbb00, -v82
	v_fmamk_f16 v82, v84, 0xb574, v82
	v_fmac_f16_e32 v86, 0x3574, v84
	v_fmac_f16_e32 v3, 0xb70e, v2
	;; [unrolled: 1-line block ×6, first 2 shown]
	v_sub_f16_e32 v90, v87, v88
	v_add_f16_e32 v2, v22, v70
	v_sub_f16_e32 v80, v81, v76
	v_add_f16_e32 v81, v76, v81
	v_add_f16_e32 v89, v86, v1
	v_sub_f16_e32 v84, v1, v86
	v_add_f16_e32 v86, v88, v87
	v_add_f16_e32 v76, v82, v94
	v_sub_f16_e32 v87, v94, v82
	v_add_f16_e32 v82, v34, v68
	v_add_f16_e32 v85, v3, v77
	v_sub_f16_e32 v83, v77, v3
	v_sub_f16_e32 v77, v95, v93
	v_add_f16_e32 v3, v37, v30
	v_add_f16_e32 v1, v2, v82
	;; [unrolled: 1-line block ×4, first 2 shown]
	v_pack_b32_f16 v93, v76, v77
	v_add_f16_e32 v77, v32, v71
	v_add_f16_e32 v91, v3, v1
	v_lshrrev_b32_e32 v92, 16, v78
	v_pack_b32_f16 v89, v89, v90
	v_pack_b32_f16 v80, v80, v85
	v_add_f16_e32 v76, v77, v94
	v_add_f16_e32 v1, v91, v78
	;; [unrolled: 1-line block ×3, first 2 shown]
	v_pack_b32_f16 v81, v81, v83
	v_pack_b32_f16 v83, v84, v86
	;; [unrolled: 1-line block ×3, first 2 shown]
	v_and_b32_e32 v96, 0xffff, v1
	v_add_f16_e32 v95, v78, v76
	ds_store_b32 v152, v93 offset:1372
	ds_store_b32 v152, v89 offset:2744
	;; [unrolled: 1-line block ×6, first 2 shown]
	v_add_f16_e32 v87, v44, v74
	v_sub_f16_e32 v88, v44, v74
	v_add_f16_e32 v76, v95, v92
	v_add_f16_e32 v74, v49, v69
	v_sub_f16_e32 v34, v34, v68
	v_sub_f16_e32 v68, v22, v70
	v_add_f16_e32 v83, v45, v51
	v_lshlrev_b32_e32 v92, 16, v76
	v_add_f16_e32 v22, v74, v87
	v_sub_f16_e32 v70, v32, v71
	v_sub_f16_e32 v71, v30, v37
	v_add_f16_e32 v89, v47, v75
	v_or_b32_e32 v92, v92, v96
	ds_load_2addr_b32 v[96:97], v152 offset0:98 offset1:147
	ds_load_2addr_b32 v[123:124], v152 offset0:196 offset1:245
	v_add_f16_e32 v30, v83, v22
	v_add_f16_e32 v80, v48, v72
	;; [unrolled: 1-line block ×3, first 2 shown]
	ds_store_2addr_b32 v152, v79, v92 offset1:49
	v_sub_f16_e32 v79, v35, v73
	v_sub_f16_e32 v73, v40, v38
	v_add_f16_e32 v40, v71, v68
	v_sub_f16_e32 v90, v47, v75
	v_sub_f16_e32 v75, v48, v72
	;; [unrolled: 1-line block ×5, first 2 shown]
	v_add_f16_e32 v45, v40, v34
	v_sub_f16_e32 v92, v34, v71
	v_sub_f16_e32 v48, v68, v34
	v_add_f16_e32 v34, v73, v70
	v_sub_f16_e32 v50, v70, v79
	v_fmac_f16_e32 v76, 0xbcab, v95
	s_wait_dscnt 0x2
	v_add_f16_e32 v32, v30, v96
	v_sub_f16_e32 v46, v2, v82
	v_sub_f16_e32 v47, v77, v94
	v_add_f16_e32 v44, v34, v79
	v_sub_f16_e32 v94, v79, v73
	v_and_b32_e32 v22, 0xffff, v32
	v_fmac_f16_e32 v32, 0xbcab, v30
	v_add_f16_e32 v30, v80, v89
	v_mul_f16_e32 v34, 0x3b00, v48
	v_fmac_f16_e32 v1, 0xbcab, v91
	v_sub_f16_e32 v69, v49, v69
	v_sub_f16_e32 v86, v74, v87
	v_add_f16_e32 v37, v85, v30
	v_lshrrev_b32_e32 v30, 16, v96
	v_mul_f16_e32 v96, 0x3a52, v38
	v_fmac_f16_e32 v34, 0x3574, v92
	v_add_f16_e32 v72, v81, v69
	v_sub_f16_e32 v91, v75, v90
	v_add_f16_e32 v35, v37, v30
	v_fma_f16 v40, v47, 0xb9e0, -v96
	v_fmac_f16_e32 v34, 0xb70e, v45
	v_sub_f16_e32 v99, v88, v81
	v_sub_f16_e32 v102, v90, v84
	v_lshlrev_b32_e32 v30, 16, v35
	v_fmac_f16_e32 v35, 0xbcab, v37
	v_sub_f16_e32 v37, v82, v3
	v_add_f16_e32 v40, v40, v76
	v_add_f16_e32 v82, v72, v88
	v_add_f16_e32 v72, v84, v75
	v_lshrrev_b32_e32 v19, 16, v97
	v_mul_f16_e32 v95, 0x3a52, v37
	v_mul_f16_e32 v37, 0x3b00, v50
	v_sub_f16_e32 v51, v40, v34
	v_sub_f16_e32 v68, v71, v68
	;; [unrolled: 1-line block ×3, first 2 shown]
	v_fma_f16 v38, v46, 0xb9e0, -v95
	v_fmac_f16_e32 v37, 0x3574, v94
	v_sub_f16_e32 v2, v3, v2
	v_sub_f16_e32 v3, v78, v77
	v_mul_f16_e32 v70, 0x3846, v70
	v_add_f16_e32 v38, v38, v1
	v_fmac_f16_e32 v37, 0xb70e, v44
	v_mul_f16_e32 v68, 0x3846, v68
	v_sub_f16_e32 v71, v83, v74
	v_sub_f16_e32 v73, v85, v80
	;; [unrolled: 1-line block ×3, first 2 shown]
	v_add_f16_e32 v49, v37, v38
	v_fmamk_f16 v75, v2, 0x2b26, v95
	v_fmamk_f16 v77, v3, 0x2b26, v96
	;; [unrolled: 1-line block ×3, first 2 shown]
	v_mul_f16_e32 v2, 0x2b26, v2
	v_pack_b32_f16 v93, v49, v51
	v_sub_f16_e32 v49, v87, v83
	v_sub_f16_e32 v87, v80, v89
	;; [unrolled: 1-line block ×4, first 2 shown]
	v_add_f16_e32 v88, v72, v90
	v_mul_f16_e32 v107, 0x3a52, v49
	v_fmamk_f16 v80, v92, 0xb574, v68
	v_mul_f16_e32 v108, 0x3a52, v51
	v_mul_f16_e32 v49, 0x3b00, v89
	;; [unrolled: 1-line block ×3, first 2 shown]
	v_fma_f16 v72, v86, 0xb9e0, -v107
	v_mul_f16_e32 v3, 0x2b26, v3
	v_fma_f16 v79, v87, 0xb9e0, -v108
	v_fmac_f16_e32 v49, 0x3574, v99
	v_fmac_f16_e32 v51, 0x3574, v102
	v_add_f16_e32 v72, v72, v32
	v_sub_f16_e32 v69, v81, v69
	v_add_f16_e32 v79, v79, v35
	v_fmac_f16_e32 v49, 0xb70e, v82
	v_fmac_f16_e32 v51, 0xb70e, v88
	v_add_f16_e32 v75, v75, v1
	v_add_f16_e32 v77, v77, v76
	v_fmac_f16_e32 v78, 0xb70e, v44
	v_sub_f16_e32 v98, v79, v49
	v_add_f16_e32 v90, v51, v72
	v_fmac_f16_e32 v80, 0xb70e, v45
	v_fma_f16 v2, v46, 0x39e0, -v2
	v_fma_f16 v3, v47, 0x39e0, -v3
	;; [unrolled: 1-line block ×3, first 2 shown]
	v_pack_b32_f16 v90, v90, v98
	v_add_nc_u32_e32 v98, 0xa00, v152
	v_add_f16_e32 v81, v78, v75
	v_sub_f16_e32 v83, v77, v80
	v_mul_f16_e32 v74, 0x3846, v74
	v_mul_f16_e32 v69, 0x3846, v69
	ds_store_2addr_b32 v98, v93, v90 offset0:95 offset1:144
	v_add_f16_e32 v90, v29, v62
	v_sub_f16_e32 v29, v29, v62
	v_add_f16_e32 v62, v27, v67
	v_add_f16_e32 v93, v24, v26
	v_sub_f16_e32 v27, v27, v67
	v_add_f16_e32 v15, v109, v90
	v_sub_f16_e32 v67, v26, v24
	;; [unrolled: 2-line block ×3, first 2 shown]
	v_sub_f16_e32 v41, v109, v90
	v_add_f16_e32 v15, v66, v15
	v_sub_f16_e32 v42, v112, v62
	v_sub_f16_e32 v36, v67, v113
	;; [unrolled: 1-line block ×4, first 2 shown]
	v_add_f16_e32 v23, v15, v97
	v_fma_f16 v39, v41, 0x39e0, -v39
	v_mul_f16_e32 v125, 0x3846, v36
	v_sub_f16_e32 v117, v114, v98
	v_sub_f16_e32 v121, v115, v63
	v_and_b32_e32 v97, 0xffff, v23
	v_fmac_f16_e32 v23, 0xbcab, v15
	v_add_f16_e32 v15, v112, v62
	v_sub_f16_e32 v112, v93, v112
	v_fma_f16 v36, v60, 0xbb00, -v125
	v_fma_f16 v47, v50, 0xbb00, -v70
	v_add_f16_e32 v1, v2, v1
	v_add_f16_e32 v15, v93, v15
	v_mul_f16_e32 v61, 0x2b26, v112
	v_add_f16_e32 v2, v3, v76
	v_fmac_f16_e32 v46, 0xb70e, v45
	v_mul_f16_e32 v3, 0x2b26, v71
	v_add_f16_e32 v24, v15, v19
	v_fma_f16 v109, v42, 0x39e0, -v61
	v_mul_f16_e32 v45, 0x2b26, v73
	v_pack_b32_f16 v81, v81, v83
	v_fmamk_f16 v83, v71, 0x2b26, v107
	v_lshlrev_b32_e32 v101, 16, v24
	v_fmac_f16_e32 v24, 0xbcab, v15
	v_add_f16_e32 v15, v114, v98
	v_fmamk_f16 v84, v73, 0x2b26, v108
	v_fma_f16 v3, v86, 0x39e0, -v3
	v_fma_f16 v45, v87, 0x39e0, -v45
	v_add_f16_e32 v31, v109, v24
	v_add_f16_e32 v19, v104, v15
	v_fma_f16 v48, v89, 0xbb00, -v69
	v_fma_f16 v50, v91, 0xbb00, -v74
	v_fmac_f16_e32 v47, 0xb70e, v44
	v_add_f16_e32 v83, v83, v32
	s_wait_dscnt 0x2
	v_add_f16_e32 v25, v19, v123
	v_add_f16_e32 v84, v84, v35
	;; [unrolled: 1-line block ×4, first 2 shown]
	v_fmac_f16_e32 v48, 0xb70e, v82
	v_and_b32_e32 v15, 0xffff, v25
	v_fmac_f16_e32 v25, 0xbcab, v19
	v_add_f16_e32 v19, v116, v100
	v_mul_f16_e64 v116, 0x2b26, v130
	v_fmac_f16_e32 v50, 0xb70e, v88
	v_sub_f16_e32 v35, v1, v47
	v_add_f16_e32 v44, v46, v2
	v_add_f16_e32 v28, v106, v19
	v_lshrrev_b32_e32 v19, 16, v123
	v_fma_f16 v116, v117, 0x39e0, -v116
	v_add_f16_e32 v45, v48, v32
	v_pack_b32_f16 v35, v35, v44
	v_sub_f16_e32 v44, v3, v50
	v_add_f16_e32 v26, v28, v19
	v_add_f16_e32 v1, v47, v1
	v_sub_f16_e32 v2, v2, v46
	v_add_f16_e32 v3, v50, v3
	v_sub_f16_e32 v32, v32, v48
	v_lshlrev_b32_e32 v19, 16, v26
	v_fmac_f16_e32 v26, 0xbcab, v28
	v_add_f16_e32 v28, v65, v110
	v_pack_b32_f16 v1, v1, v2
	v_pack_b32_f16 v2, v3, v32
	v_fmamk_f16 v85, v102, 0xb574, v74
	v_fmamk_f16 v92, v99, 0xb574, v69
	v_add_f16_e32 v33, v28, v29
	v_add_f16_e32 v28, v67, v113
	v_sub_f16_e32 v113, v103, v115
	ds_store_2addr_b32 v223, v1, v2 offset0:141 offset1:190
	v_sub_f16_e32 v1, v38, v37
	v_add_f16_e32 v2, v34, v40
	v_add_f16_e32 v61, v28, v27
	;; [unrolled: 1-line block ×3, first 2 shown]
	v_fma_f16 v39, v43, 0xbb00, -v126
	v_mul_f16_e64 v136, 0x3846, v113
	v_sub_f16_e32 v3, v72, v51
	v_fmac_f16_e32 v36, 0xb70e, v61
	v_add_f16_e32 v32, v49, v79
	v_fmac_f16_e32 v39, 0xb70e, v33
	v_fma_f16 v120, v121, 0xbb00, -v136
	v_fmac_f16_e32 v85, 0xb70e, v88
	v_add_f16_e32 v109, v36, v28
	v_fmac_f16_e32 v92, 0xb70e, v82
	v_sub_f16_e32 v110, v31, v39
	v_pack_b32_f16 v1, v1, v2
	v_pack_b32_f16 v2, v3, v32
	v_sub_f16_e32 v3, v83, v85
	v_add_f16_e32 v32, v92, v84
	v_pack_b32_f16 v109, v109, v110
	v_add_f16_e32 v110, v103, v115
	v_sub_f16_e32 v115, v105, v118
	ds_store_2addr_b32 v246, v1, v2 offset0:100 offset1:149
	v_sub_f16_e32 v1, v75, v78
	v_add_f16_e32 v2, v80, v77
	v_add_f16_e32 v114, v110, v63
	;; [unrolled: 1-line block ×3, first 2 shown]
	v_mul_f16_e64 v118, 0x2b26, v132
	v_mul_f16_e64 v134, 0x3846, v115
	v_add_f16_e32 v115, v116, v25
	v_fmac_f16_e32 v120, 0xb70e, v114
	v_add_f16_e32 v123, v110, v64
	v_fma_f16 v118, v119, 0x39e0, -v118
	v_pack_b32_f16 v1, v1, v2
	v_pack_b32_f16 v2, v3, v32
	;; [unrolled: 1-line block ×3, first 2 shown]
	v_sub_f16_e32 v3, v29, v65
	v_add_f16_e32 v116, v118, v26
	v_fma_f16 v118, v122, 0xbb00, -v134
	ds_store_2addr_b32 v187, v1, v2 offset0:59 offset1:108
	v_or_b32_e32 v1, v30, v22
	v_or_b32_e32 v2, v101, v97
	v_sub_f16_e32 v113, v116, v120
	v_fmac_f16_e32 v118, 0xb70e, v123
	v_sub_f16_e32 v22, v27, v67
	ds_store_2addr_b32 v208, v35, v44 offset0:54 offset1:103
	ds_store_2addr_b32 v152, v1, v2 offset0:98 offset1:147
	v_sub_f16_e32 v1, v90, v66
	v_add_f16_e32 v110, v118, v115
	v_sub_f16_e32 v2, v62, v93
	v_fmamk_f16 v37, v22, 0xb574, v125
	v_fmamk_f16 v38, v3, 0xb574, v126
	v_mul_f16_e32 v1, 0x3a52, v1
	v_pack_b32_f16 v110, v110, v113
	v_add_nc_u32_e32 v113, 0x1600, v152
	v_mul_f16_e32 v2, 0x3a52, v2
	v_sub_f16_e32 v27, v98, v104
	v_fmamk_f16 v34, v111, 0x2b26, v1
	v_sub_f16_e32 v29, v100, v106
	ds_store_2addr_b32 v113, v109, v110 offset0:111 offset1:160
	v_add_f16_e32 v109, v12, v54
	v_sub_f16_e32 v110, v12, v54
	v_add_f16_e32 v12, v10, v59
	v_sub_f16_e32 v54, v10, v59
	;; [unrolled: 2-line block ×3, first 2 shown]
	v_add_f16_e32 v10, v8, v5
	v_add_f16_e32 v55, v6, v56
	v_sub_f16_e32 v56, v6, v56
	v_add_f16_e32 v4, v59, v109
	v_lshrrev_b32_e32 v6, 16, v124
	v_lshrrev_b32_e32 v8, 16, v0
	v_sub_f16_e64 v140, v110, v133
	v_add_f16_e32 v21, v9, v56
	v_add_f16_e32 v4, v10, v4
	v_sub_f16_e64 v137, v9, v56
	v_sub_f16_e64 v16, v135, v55
	;; [unrolled: 1-line block ×3, first 2 shown]
	v_fmamk_f16 v35, v112, 0x2b26, v2
	v_add_f16_e32 v5, v4, v124
	v_add_f16_e32 v124, v11, v57
	;; [unrolled: 1-line block ×3, first 2 shown]
	v_sub_f16_e32 v18, v18, v58
	v_add_f16_e32 v58, v13, v52
	v_and_b32_e32 v129, 0xffff, v5
	v_fmac_f16_e32 v5, 0xbcab, v4
	v_add_f16_e32 v4, v55, v12
	v_add_f16_e32 v52, v17, v53
	v_sub_f16_e32 v17, v17, v53
	v_add_f16_e32 v53, v14, v20
	v_sub_f16_e32 v14, v10, v59
	v_add_f16_e64 v4, v135, v4
	v_add_f16_e64 v13, v133, v113
	v_sub_f16_e64 v20, v133, v113
	v_sub_f16_e64 v143, v57, v138
	;; [unrolled: 1-line block ×3, first 2 shown]
	v_add_f16_e32 v6, v4, v6
	v_add_f16_e32 v13, v13, v110
	v_mul_f16_e32 v20, 0x3846, v20
	v_sub_f16_e64 v151, v18, v142
	v_mul_f16_e64 v148, 0x3a52, v143
	v_lshlrev_b32_e32 v131, 16, v6
	v_fmac_f16_e32 v6, 0xbcab, v4
	v_add_f16_e32 v4, v58, v124
	v_fma_f16 v149, 0xb574, v140, v20
	v_mul_f16_e64 v143, 0x3846, v154
	v_add_f16_e32 v34, v34, v23
	v_add_f16_e32 v35, v35, v24
	;; [unrolled: 1-line block ×3, first 2 shown]
	v_fmac_f16_e64 v149, 0xb70e, v13
	v_fma_f16 v155, 0xb574, v151, v143
	v_fmac_f16_e32 v37, 0xb70e, v61
	v_fmac_f16_e32 v38, 0xb70e, v33
	v_add_f16_e32 v7, v4, v0
	v_sub_f16_e32 v30, v63, v103
	v_sub_f16_e32 v32, v64, v105
	v_add_f16_e32 v40, v37, v34
	v_sub_f16_e32 v44, v35, v38
	v_and_b32_e32 v0, 0xffff, v7
	v_fmac_f16_e32 v7, 0xbcab, v4
	v_add_f16_e32 v4, v52, v57
	v_mul_f16_e32 v27, 0x3a52, v27
	v_mul_f16_e32 v29, 0x3a52, v29
	v_pack_b32_f16 v40, v40, v44
	v_fma_f16 v46, 0xb574, v32, v134
	v_add_f16_e64 v11, v138, v4
	v_sub_f16_e64 v138, v138, v52
	v_fma_f16 v44, 0x2b26, v130, v27
	v_fma_f16 v45, 0x2b26, v132, v29
	;; [unrolled: 1-line block ×3, first 2 shown]
	v_add_f16_e32 v8, v11, v8
	v_fmac_f16_e32 v46, 0xb70e, v123
	v_add_f16_e32 v44, v44, v25
	v_add_f16_e32 v45, v45, v26
	v_fmac_f16_e32 v47, 0xb70e, v114
	v_lshlrev_b32_e32 v4, 16, v8
	v_fmac_f16_e32 v8, 0xbcab, v11
	v_sub_f16_e32 v11, v109, v10
	v_sub_f16_e64 v10, v12, v135
	v_add_f16_e32 v48, v46, v44
	v_sub_f16_e32 v49, v45, v47
	v_fma_f16 v2, v42, 0xb9e0, -v2
	v_mul_f16_e64 v133, 0x3a52, v11
	v_add_f16_e32 v11, v21, v54
	v_mul_f16_e64 v135, 0x3a52, v10
	v_mul_f16_e64 v21, 0x3846, v137
	v_sub_f16_e64 v137, v53, v58
	v_fma_f16 v9, 0x2b26, v14, v133
	v_pack_b32_f16 v48, v48, v49
	v_fma_f16 v1, v41, 0xb9e0, -v1
	v_fma_f16 v147, 0xb574, v141, v21
	v_add_f16_e32 v2, v2, v24
	v_add_f16_e64 v144, v9, v5
	v_fma_f16 v9, 0x2b26, v16, v135
	ds_store_2addr_b32 v217, v40, v48 offset0:106 offset1:155
	v_fmac_f16_e64 v147, 0xb70e, v11
	v_mul_f16_e32 v40, 0x3b00, v60
	v_mul_f16_e32 v24, 0x3b00, v121
	v_add_f16_e64 v145, v9, v6
	v_add_f16_e32 v1, v1, v23
	v_sub_f16_e64 v9, v144, v147
	v_fmac_f16_e32 v40, 0x3574, v22
	v_mul_f16_e32 v22, 0x3b00, v43
	v_add_f16_e64 v10, v149, v145
	v_fma_f16 v23, v119, 0xb9e0, -v29
	v_fmac_f16_e32 v24, 0x3574, v30
	v_fmac_f16_e32 v40, 0xb70e, v61
	;; [unrolled: 1-line block ×3, first 2 shown]
	v_pack_b32_f16 v9, v9, v10
	v_sub_f16_e32 v10, v124, v53
	v_add_f16_e64 v53, v139, v128
	v_add_f16_e64 v139, v142, v17
	v_mul_f16_e64 v142, 0x3846, v153
	v_fma_f16 v3, v117, 0xb9e0, -v27
	v_mul_f16_e64 v146, 0x3a52, v10
	v_add_f16_e32 v53, v53, v127
	v_add_f16_e64 v139, v139, v18
	v_fma_f16 v156, 0xb574, v150, v142
	v_mul_f16_e32 v27, 0x3b00, v122
	v_fma_f16 v10, 0x2b26, v137, v146
	v_fmac_f16_e32 v22, 0xb70e, v33
	v_fmac_f16_e64 v155, 0xb70e, v139
	v_fmac_f16_e64 v156, 0xb70e, v53
	v_fmac_f16_e32 v27, 0x3574, v32
	v_add_f16_e64 v153, v10, v7
	v_fma_f16 v10, 0x2b26, v138, v148
	v_add_f16_e32 v3, v3, v25
	v_add_f16_e32 v23, v23, v26
	v_fmac_f16_e32 v24, 0xb70e, v114
	v_fmac_f16_e32 v27, 0xb70e, v123
	v_add_f16_e64 v154, v10, v8
	v_sub_f16_e64 v10, v153, v155
	v_add_f16_e32 v25, v40, v1
	v_sub_f16_e32 v26, v2, v22
	v_sub_f16_e32 v1, v1, v40
	v_add_f16_e64 v157, v156, v154
	v_add_f16_e32 v2, v22, v2
	v_add_f16_e32 v22, v24, v23
	v_pack_b32_f16 v25, v25, v26
	v_add_f16_e32 v26, v27, v3
	v_pack_b32_f16 v10, v10, v157
	v_add_nc_u32_e32 v157, 0x2200, v152
	v_sub_f16_e32 v3, v3, v27
	v_pack_b32_f16 v1, v1, v2
	v_sub_f16_e32 v29, v23, v24
	v_mul_f16_e32 v14, 0x2b26, v14
	ds_store_2addr_b32 v157, v9, v10 offset0:127 offset1:176
	scratch_load_b64 v[157:158], off, off offset:352 th:TH_LOAD_LU ; 8-byte Folded Reload
	v_pack_b32_f16 v2, v3, v22
	v_sub_f16_e32 v3, v44, v46
	v_add_f16_e32 v22, v47, v45
	v_pack_b32_f16 v26, v26, v29
	v_add_f16_e32 v29, v120, v116
	ds_store_2addr_b32 v169, v1, v2 offset0:70 offset1:119
	v_sub_f16_e32 v1, v34, v37
	v_add_f16_e32 v2, v38, v35
	ds_store_2addr_b32 v195, v25, v26 offset0:65 offset1:114
	v_sub_f16_e32 v25, v28, v36
	v_add_f16_e32 v26, v39, v31
	v_sub_f16_e32 v28, v115, v118
	v_pack_b32_f16 v1, v1, v2
	v_pack_b32_f16 v2, v3, v22
	v_add_f16_e64 v3, v155, v153
	v_pack_b32_f16 v25, v25, v26
	v_pack_b32_f16 v26, v28, v29
	v_sub_f16_e32 v23, v58, v124
	ds_store_2addr_b32 v187, v1, v2 offset0:157 offset1:206
	v_or_b32_e32 v1, v19, v15
	v_or_b32_e32 v2, v131, v129
	v_sub_f16_e64 v15, v154, v156
	ds_store_2addr_b32 v208, v25, v26 offset0:152 offset1:201
	v_sub_f16_e64 v19, v128, v127
	v_sub_f16_e32 v24, v52, v57
	ds_store_2addr_b32 v152, v1, v2 offset0:196 offset1:245
	v_add_f16_e64 v1, v147, v144
	v_sub_f16_e64 v2, v145, v149
	v_sub_f16_e32 v17, v17, v18
	v_fma_f16 v30, v24, 0xb9e0, -v148
	v_mul_f16_e32 v18, 0x3b00, v19
	v_add_f16_e32 v94, v85, v83
	v_pack_b32_f16 v1, v1, v2
	v_pack_b32_f16 v2, v3, v15
	v_sub_f16_e32 v3, v55, v12
	v_sub_f16_e32 v12, v56, v54
	v_mul_f16_e32 v25, 0x3b00, v17
	v_add_f16_e32 v30, v30, v8
	ds_store_2addr_b32 v181, v1, v2 offset0:76 offset1:125
	v_sub_f16_e32 v1, v113, v110
	v_sub_f16_e32 v2, v59, v109
	v_mul_f16_e32 v22, 0x3b00, v12
	v_fma_f16 v27, v3, 0xb9e0, -v135
	v_fma_f16 v12, v12, 0xbb00, -v21
	v_mul_f16_e32 v15, 0x3b00, v1
	v_fma_f16 v26, v2, 0xb9e0, -v133
	v_fmac_f16_e64 v22, 0x3574, v141
	v_fma_f16 v2, v2, 0x39e0, -v14
	v_mul_f16_e32 v14, 0x2b26, v16
	v_fmac_f16_e64 v15, 0x3574, v140
	v_add_f16_e32 v26, v26, v5
	v_add_f16_e32 v27, v27, v6
	v_fmac_f16_e32 v22, 0xb70e, v11
	v_fma_f16 v3, v3, 0x39e0, -v14
	v_fmac_f16_e32 v15, 0xb70e, v13
	v_fma_f16 v1, v1, 0xbb00, -v20
	v_add_f16_e32 v2, v2, v5
	v_add_f16_e32 v28, v22, v26
	;; [unrolled: 1-line block ×3, first 2 shown]
	v_sub_f16_e32 v29, v27, v15
	v_mul_f16_e64 v5, 0x2b26, v137
	v_mul_f16_e64 v6, 0x2b26, v138
	v_fmac_f16_e32 v1, 0xb70e, v13
	v_fma_f16 v13, v19, 0xbb00, -v142
	v_pack_b32_f16 v28, v28, v29
	v_fma_f16 v29, v23, 0xb9e0, -v146
	v_fma_f16 v5, v23, 0x39e0, -v5
	;; [unrolled: 1-line block ×4, first 2 shown]
	v_fmac_f16_e32 v12, 0xb70e, v11
	v_add_f16_e32 v29, v29, v7
	v_add_f16_e32 v5, v5, v7
	;; [unrolled: 1-line block ×3, first 2 shown]
	v_fmac_f16_e32 v13, 0xb70e, v53
	v_fmac_f16_e64 v14, 0xb70e, v139
	v_sub_f16_e32 v7, v2, v12
	v_add_f16_e32 v8, v1, v3
	v_fmac_f16_e64 v18, 0x3574, v150
	v_fmac_f16_e64 v25, 0x3574, v151
	v_add_f16_e32 v2, v12, v2
	v_sub_f16_e32 v1, v3, v1
	v_pack_b32_f16 v7, v7, v8
	v_sub_f16_e32 v8, v5, v14
	v_add_f16_e32 v3, v14, v5
	v_sub_f16_e32 v5, v6, v13
	v_fmac_f16_e64 v25, 0xb70e, v139
	v_fmac_f16_e32 v18, 0xb70e, v53
	v_pack_b32_f16 v1, v2, v1
	v_sub_f16_e32 v95, v84, v92
	v_pack_b32_f16 v2, v3, v5
	v_add_f16_e32 v31, v25, v29
	v_sub_f16_e32 v32, v30, v18
	v_sub_f16_e32 v3, v29, v25
	v_add_f16_e32 v5, v18, v30
	ds_store_2addr_b32 v194, v1, v2 offset0:81 offset1:130
	v_sub_f16_e32 v1, v26, v22
	v_add_f16_e32 v2, v15, v27
	v_pack_b32_f16 v94, v94, v95
	v_pack_b32_f16 v31, v31, v32
	v_or_b32_e32 v0, v4, v0
	s_delay_alu instid0(VALU_DEP_4)
	v_pack_b32_f16 v1, v1, v2
	v_pack_b32_f16 v2, v3, v5
	ds_store_2addr_b32 v252, v81, v94 offset0:136 offset1:185
	ds_store_2addr_b32 v195, v28, v31 offset0:163 offset1:212
	ds_store_b32 v152, v0 offset:1176
	ds_store_2addr_b32 v169, v1, v2 offset0:168 offset1:217
	s_wait_loadcnt 0x0
	v_mad_co_u64_u32 v[9:10], null, s10, v157, 0
	s_delay_alu instid0(VALU_DEP_1) | instskip(SKIP_3) | instid1(VALU_DEP_1)
	v_mad_co_u64_u32 v[157:158], null, s11, v157, v[10:11]
	v_add_f16_e32 v11, v13, v6
	s_mov_b32 s10, 0xb4e81b4f
	s_mov_b32 s11, 0x3f3b4e81
	v_pack_b32_f16 v8, v8, v11
	s_delay_alu instid0(VALU_DEP_3)
	v_mov_b32_e32 v10, v157
	v_mad_co_u64_u32 v[157:158], null, s8, v176, 0
	ds_store_2addr_b32 v161, v7, v8 offset0:122 offset1:171
	global_wb scope:SCOPE_SE
	s_wait_dscnt 0x0
	s_barrier_signal -1
	s_barrier_wait -1
	global_inv scope:SCOPE_SE
	s_clause 0x6
	scratch_load_b32 v25, off, off offset:392 th:TH_LOAD_LU
	scratch_load_b32 v26, off, off offset:396 th:TH_LOAD_LU
	;; [unrolled: 1-line block ×7, first 2 shown]
	ds_load_2addr_b32 v[5:6], v152 offset1:49
	v_mad_co_u64_u32 v[158:159], null, s9, v176, v[158:159]
	v_lshlrev_b64_e32 v[9:10], 2, v[9:10]
	ds_load_2addr_b32 v[3:4], v252 offset0:38 offset1:87
	ds_load_2addr_b32 v[7:8], v181 offset0:174 offset1:223
	s_clause 0x5
	scratch_load_b32 v31, off, off offset:368 th:TH_LOAD_LU
	scratch_load_b32 v33, off, off offset:348 th:TH_LOAD_LU
	;; [unrolled: 1-line block ×6, first 2 shown]
	v_add_co_u32 v159, vcc_lo, s0, v9
	s_wait_alu 0xfffd
	v_add_co_ci_u32_e32 v160, vcc_lo, s1, v10, vcc_lo
	v_lshlrev_b64_e32 v[9:10], 2, v[157:158]
	s_mul_u64 s[8:9], s[8:9], s[12:13]
	s_wait_dscnt 0x2
	v_lshrrev_b32_e32 v17, 16, v5
	s_delay_alu instid0(VALU_DEP_2)
	v_add_co_u32 v9, vcc_lo, v159, v9
	s_wait_alu 0xfffd
	v_add_co_ci_u32_e32 v10, vcc_lo, v160, v10, vcc_lo
	s_wait_dscnt 0x1
	v_lshrrev_b32_e32 v21, 16, v4
	s_wait_loadcnt 0xc
	v_mul_f16_e32 v0, v25, v5
	s_wait_loadcnt 0xb
	s_delay_alu instid0(VALU_DEP_1) | instskip(NEXT) | instid1(VALU_DEP_1)
	v_fma_f16 v0, v26, v17, -v0
	v_cvt_f32_f16_e32 v0, v0
	s_delay_alu instid0(VALU_DEP_1) | instskip(SKIP_1) | instid1(VALU_DEP_1)
	v_cvt_f64_f32_e32 v[0:1], v0
	s_wait_alu 0xfffe
	v_mul_f64_e32 v[11:12], s[10:11], v[0:1]
	s_delay_alu instid0(VALU_DEP_1) | instskip(SKIP_3) | instid1(VALU_DEP_4)
	v_and_or_b32 v0, 0x1ff, v12, v11
	v_lshrrev_b32_e32 v1, 8, v12
	v_bfe_u32 v19, v12, 20, 11
	v_lshrrev_b32_e32 v12, 16, v12
	v_cmp_ne_u32_e32 vcc_lo, 0, v0
	s_wait_alu 0xfffd
	v_cndmask_b32_e64 v0, 0, 1, vcc_lo
	s_delay_alu instid0(VALU_DEP_1) | instskip(SKIP_2) | instid1(VALU_DEP_3)
	v_and_or_b32 v18, 0xffe, v1, v0
	v_sub_nc_u32_e32 v0, 0x3f1, v19
	v_add_nc_u32_e32 v19, 0xfffffc10, v19
	v_or_b32_e32 v1, 0x1000, v18
	s_delay_alu instid0(VALU_DEP_3) | instskip(NEXT) | instid1(VALU_DEP_1)
	v_med3_i32 v0, v0, 0, 13
	v_lshrrev_b32_e32 v20, v0, v1
	s_delay_alu instid0(VALU_DEP_1) | instskip(NEXT) | instid1(VALU_DEP_1)
	v_lshlrev_b32_e32 v0, v0, v20
	v_cmp_ne_u32_e64 s1, v0, v1
	s_wait_loadcnt 0xa
	v_mul_f16_e32 v0, v29, v4
	s_wait_loadcnt 0x9
	s_delay_alu instid0(VALU_DEP_1) | instskip(NEXT) | instid1(VALU_DEP_1)
	v_fma_f16 v0, v30, v21, -v0
	v_cvt_f32_f16_e32 v0, v0
	s_delay_alu instid0(VALU_DEP_1) | instskip(NEXT) | instid1(VALU_DEP_1)
	v_cvt_f64_f32_e32 v[0:1], v0
	v_mul_f64_e32 v[15:16], s[10:11], v[0:1]
	s_delay_alu instid0(VALU_DEP_1)
	v_and_or_b32 v0, 0x1ff, v16, v15
	v_lshrrev_b32_e32 v1, 8, v16
	v_bfe_u32 v23, v16, 20, 11
	s_wait_dscnt 0x0
	v_lshrrev_b32_e32 v15, 16, v7
	v_cmp_ne_u32_e32 vcc_lo, 0, v0
	s_wait_alu 0xfffd
	v_cndmask_b32_e64 v0, 0, 1, vcc_lo
	s_delay_alu instid0(VALU_DEP_1) | instskip(SKIP_1) | instid1(VALU_DEP_2)
	v_and_or_b32 v22, 0xffe, v1, v0
	v_sub_nc_u32_e32 v0, 0x3f1, v23
	v_or_b32_e32 v1, 0x1000, v22
	s_delay_alu instid0(VALU_DEP_2) | instskip(NEXT) | instid1(VALU_DEP_1)
	v_med3_i32 v0, v0, 0, 13
	v_lshrrev_b32_e32 v24, v0, v1
	s_delay_alu instid0(VALU_DEP_1) | instskip(NEXT) | instid1(VALU_DEP_1)
	v_lshlrev_b32_e32 v0, v0, v24
	v_cmp_ne_u32_e64 s0, v0, v1
	s_wait_loadcnt 0x8
	v_mul_f16_e32 v0, v27, v7
	s_wait_loadcnt 0x6
	s_delay_alu instid0(VALU_DEP_1) | instskip(SKIP_1) | instid1(VALU_DEP_2)
	v_fma_f16 v0, v28, v15, -v0
	v_mul_f16_e32 v15, v27, v15
	v_cvt_f32_f16_e32 v0, v0
	s_delay_alu instid0(VALU_DEP_2) | instskip(NEXT) | instid1(VALU_DEP_2)
	v_fmac_f16_e32 v15, v28, v7
	v_cvt_f64_f32_e32 v[0:1], v0
	s_delay_alu instid0(VALU_DEP_2) | instskip(NEXT) | instid1(VALU_DEP_2)
	v_cvt_f32_f16_e32 v7, v15
	v_mul_f64_e32 v[1:2], s[10:11], v[0:1]
	s_delay_alu instid0(VALU_DEP_1) | instskip(SKIP_3) | instid1(VALU_DEP_4)
	v_and_or_b32 v0, 0x1ff, v2, v1
	v_lshrrev_b32_e32 v1, 8, v2
	v_bfe_u32 v13, v2, 20, 11
	v_lshrrev_b32_e32 v2, 16, v2
	v_cmp_ne_u32_e32 vcc_lo, 0, v0
	s_wait_alu 0xfffd
	v_cndmask_b32_e64 v0, 0, 1, vcc_lo
	s_delay_alu instid0(VALU_DEP_1) | instskip(SKIP_2) | instid1(VALU_DEP_3)
	v_and_or_b32 v11, 0xffe, v1, v0
	v_sub_nc_u32_e32 v0, 0x3f1, v13
	v_add_nc_u32_e32 v13, 0xfffffc10, v13
	v_or_b32_e32 v1, 0x1000, v11
	s_delay_alu instid0(VALU_DEP_3) | instskip(SKIP_1) | instid1(VALU_DEP_2)
	v_med3_i32 v0, v0, 0, 13
	v_cmp_ne_u32_e64 s6, 0, v11
	v_lshrrev_b32_e32 v14, v0, v1
	s_delay_alu instid0(VALU_DEP_1) | instskip(NEXT) | instid1(VALU_DEP_1)
	v_lshlrev_b32_e32 v0, v0, v14
	v_cmp_ne_u32_e32 vcc_lo, v0, v1
	v_mul_f16_e32 v0, v25, v17
	s_delay_alu instid0(VALU_DEP_1) | instskip(NEXT) | instid1(VALU_DEP_1)
	v_fmac_f16_e32 v0, v26, v5
	v_cvt_f32_f16_e32 v0, v0
	s_delay_alu instid0(VALU_DEP_1) | instskip(NEXT) | instid1(VALU_DEP_1)
	v_cvt_f64_f32_e32 v[0:1], v0
	v_mul_f64_e32 v[0:1], s[10:11], v[0:1]
	s_delay_alu instid0(VALU_DEP_1) | instskip(SKIP_1) | instid1(VALU_DEP_2)
	v_and_or_b32 v0, 0x1ff, v1, v0
	v_lshrrev_b32_e32 v5, 8, v1
	v_cmp_ne_u32_e64 s2, 0, v0
	s_wait_alu 0xf1ff
	s_delay_alu instid0(VALU_DEP_1) | instskip(NEXT) | instid1(VALU_DEP_1)
	v_cndmask_b32_e64 v0, 0, 1, s2
	v_and_or_b32 v0, 0xffe, v5, v0
	v_bfe_u32 v5, v1, 20, 11
	v_lshrrev_b32_e32 v1, 16, v1
	s_delay_alu instid0(VALU_DEP_3) | instskip(NEXT) | instid1(VALU_DEP_3)
	v_or_b32_e32 v25, 0x1000, v0
	v_sub_nc_u32_e32 v17, 0x3f1, v5
	v_add_nc_u32_e32 v5, 0xfffffc10, v5
	v_cmp_ne_u32_e64 s3, 0, v0
	s_delay_alu instid0(VALU_DEP_3) | instskip(NEXT) | instid1(VALU_DEP_1)
	v_med3_i32 v17, v17, 0, 13
	v_lshrrev_b32_e32 v26, v17, v25
	s_delay_alu instid0(VALU_DEP_1) | instskip(NEXT) | instid1(VALU_DEP_1)
	v_lshlrev_b32_e32 v17, v17, v26
	v_cmp_ne_u32_e64 s2, v17, v25
	v_lshl_or_b32 v25, v5, 12, v0
	s_wait_alu 0xf1ff
	s_delay_alu instid0(VALU_DEP_2) | instskip(SKIP_1) | instid1(VALU_DEP_2)
	v_cndmask_b32_e64 v17, 0, 1, s2
	v_cmp_gt_i32_e64 s2, 1, v5
	v_or_b32_e32 v17, v26, v17
	s_wait_alu 0xf1ff
	s_delay_alu instid0(VALU_DEP_1) | instskip(SKIP_2) | instid1(VALU_DEP_2)
	v_cndmask_b32_e64 v17, v25, v17, s2
	v_cndmask_b32_e64 v25, 0, 1, s1
	v_cmp_gt_i32_e64 s1, 1, v19
	v_or_b32_e32 v20, v20, v25
	v_lshl_or_b32 v25, v19, 12, v18
	s_wait_alu 0xf1ff
	s_delay_alu instid0(VALU_DEP_1) | instskip(SKIP_1) | instid1(VALU_DEP_2)
	v_cndmask_b32_e64 v20, v25, v20, s1
	v_and_b32_e32 v25, 7, v17
	v_and_b32_e32 v0, 7, v20
	s_delay_alu instid0(VALU_DEP_2) | instskip(SKIP_1) | instid1(VALU_DEP_3)
	v_cmp_lt_i32_e64 s1, 5, v25
	v_cmp_eq_u32_e64 s2, 3, v25
	v_cmp_lt_i32_e64 s4, 5, v0
	v_cmp_eq_u32_e64 s5, 3, v0
	v_lshrrev_b32_e32 v0, 2, v17
	s_delay_alu instid0(VALU_DEP_4) | instskip(SKIP_1) | instid1(VALU_DEP_3)
	s_or_b32 s1, s2, s1
	v_cndmask_b32_e64 v17, 0, 1, s3
	s_or_b32 s2, s5, s4
	s_wait_alu 0xfffe
	v_add_co_ci_u32_e64 v0, s1, 0, v0, s1
	v_cmp_gt_i32_e64 s1, 31, v5
	v_lshl_or_b32 v17, v17, 9, 0x7c00
	s_wait_alu 0xf1ff
	s_delay_alu instid0(VALU_DEP_2) | instskip(SKIP_3) | instid1(VALU_DEP_2)
	v_cndmask_b32_e64 v0, 0x7c00, v0, s1
	v_cmp_eq_u32_e64 s1, 0x40f, v5
	v_lshrrev_b32_e32 v5, 2, v20
	s_wait_alu 0xf1ff
	v_cndmask_b32_e64 v0, v0, v17, s1
	v_cmp_ne_u32_e64 s1, 0, v18
	s_delay_alu instid0(VALU_DEP_3) | instskip(SKIP_1) | instid1(VALU_DEP_4)
	v_add_co_ci_u32_e64 v5, s2, 0, v5, s2
	v_cmp_gt_i32_e64 s2, 31, v19
	v_and_or_b32 v0, 0x8000, v1, v0
	s_wait_alu 0xf1ff
	v_cndmask_b32_e64 v17, 0, 1, s1
	v_cmp_eq_u32_e64 s1, 0x40f, v19
	v_cndmask_b32_e64 v5, 0x7c00, v5, s2
	v_and_b32_e32 v0, 0xffff, v0
	s_delay_alu instid0(VALU_DEP_4) | instskip(SKIP_1) | instid1(VALU_DEP_1)
	v_lshl_or_b32 v17, v17, 9, 0x7c00
	s_wait_alu 0xf1ff
	v_cndmask_b32_e64 v5, v5, v17, s1
	s_delay_alu instid0(VALU_DEP_1)
	v_and_or_b32 v1, 0x8000, v12, v5
	v_mul_f16_e32 v5, v29, v21
	scratch_load_b32 v29, off, off offset:360 th:TH_LOAD_LU ; 4-byte Folded Reload
	v_lshl_or_b32 v0, v1, 16, v0
	v_fmac_f16_e32 v5, v30, v4
	scratch_load_b32 v30, off, off offset:364 th:TH_LOAD_LU ; 4-byte Folded Reload
	global_store_b32 v[9:10], v0, off
	v_cvt_f32_f16_e32 v4, v5
	v_add_co_u32 v0, s1, v9, s14
	s_wait_alu 0xf1ff
	v_add_co_ci_u32_e64 v1, s1, s15, v10, s1
	s_delay_alu instid0(VALU_DEP_3) | instskip(NEXT) | instid1(VALU_DEP_1)
	v_cvt_f64_f32_e32 v[4:5], v4
	v_mul_f64_e32 v[4:5], s[10:11], v[4:5]
	s_delay_alu instid0(VALU_DEP_1) | instskip(SKIP_1) | instid1(VALU_DEP_2)
	v_and_or_b32 v4, 0x1ff, v5, v4
	v_lshrrev_b32_e32 v9, 8, v5
	v_cmp_ne_u32_e64 s1, 0, v4
	s_wait_alu 0xf1ff
	s_delay_alu instid0(VALU_DEP_1) | instskip(NEXT) | instid1(VALU_DEP_1)
	v_cndmask_b32_e64 v4, 0, 1, s1
	v_and_or_b32 v4, 0xffe, v9, v4
	v_bfe_u32 v9, v5, 20, 11
	v_lshrrev_b32_e32 v5, 16, v5
	s_delay_alu instid0(VALU_DEP_3) | instskip(NEXT) | instid1(VALU_DEP_3)
	v_or_b32_e32 v12, 0x1000, v4
	v_sub_nc_u32_e32 v10, 0x3f1, v9
	v_add_nc_u32_e32 v9, 0xfffffc10, v9
	s_delay_alu instid0(VALU_DEP_2) | instskip(NEXT) | instid1(VALU_DEP_1)
	v_med3_i32 v10, v10, 0, 13
	v_lshrrev_b32_e32 v17, v10, v12
	s_delay_alu instid0(VALU_DEP_1) | instskip(NEXT) | instid1(VALU_DEP_1)
	v_lshlrev_b32_e32 v10, v10, v17
	v_cmp_ne_u32_e64 s1, v10, v12
	v_lshl_or_b32 v12, v9, 12, v4
	s_wait_alu 0xf1ff
	s_delay_alu instid0(VALU_DEP_2) | instskip(SKIP_1) | instid1(VALU_DEP_2)
	v_cndmask_b32_e64 v10, 0, 1, s1
	v_cmp_gt_i32_e64 s1, 1, v9
	v_or_b32_e32 v10, v17, v10
	s_wait_alu 0xf1ff
	s_delay_alu instid0(VALU_DEP_1) | instskip(NEXT) | instid1(VALU_DEP_1)
	v_cndmask_b32_e64 v10, v12, v10, s1
	v_and_b32_e32 v12, 7, v10
	v_lshrrev_b32_e32 v10, 2, v10
	s_delay_alu instid0(VALU_DEP_2) | instskip(SKIP_4) | instid1(VALU_DEP_4)
	v_cmp_lt_i32_e64 s1, 5, v12
	v_cmp_eq_u32_e64 s2, 3, v12
	v_cndmask_b32_e64 v12, 0, 1, s0
	v_cmp_ne_u32_e64 s0, 0, v4
	v_add_nc_u32_e32 v4, 0xfffffc10, v23
	s_or_b32 s1, s2, s1
	s_delay_alu instid0(VALU_DEP_3)
	v_or_b32_e32 v12, v24, v12
	s_wait_alu 0xfffe
	v_add_co_ci_u32_e64 v10, s1, 0, v10, s1
	v_lshl_or_b32 v17, v4, 12, v22
	v_cmp_gt_i32_e64 s3, 1, v4
	v_cmp_gt_i32_e64 s1, 31, v9
	v_cmp_ne_u32_e64 s2, 0, v22
	s_wait_alu 0xf1ff
	s_delay_alu instid0(VALU_DEP_3) | instskip(SKIP_3) | instid1(VALU_DEP_3)
	v_cndmask_b32_e64 v12, v17, v12, s3
	v_cndmask_b32_e64 v17, 0, 1, s0
	;; [unrolled: 1-line block ×3, first 2 shown]
	v_cmp_eq_u32_e64 s0, 0x40f, v9
	v_lshl_or_b32 v17, v17, 9, 0x7c00
	s_wait_alu 0xf1ff
	s_delay_alu instid0(VALU_DEP_1) | instskip(SKIP_1) | instid1(VALU_DEP_2)
	v_cndmask_b32_e64 v9, v10, v17, s0
	v_and_b32_e32 v10, 7, v12
	v_and_or_b32 v5, 0x8000, v5, v9
	s_delay_alu instid0(VALU_DEP_2) | instskip(SKIP_4) | instid1(VALU_DEP_4)
	v_cmp_lt_i32_e64 s0, 5, v10
	v_cmp_eq_u32_e64 s1, 3, v10
	v_lshrrev_b32_e32 v10, 2, v12
	v_cndmask_b32_e64 v12, 0, 1, s2
	v_and_b32_e32 v5, 0xffff, v5
	s_or_b32 s0, s1, s0
	s_wait_alu 0xfffe
	v_add_co_ci_u32_e64 v10, s0, 0, v10, s0
	v_cmp_gt_i32_e64 s0, 31, v4
	v_lshl_or_b32 v12, v12, 9, 0x7c00
	s_wait_alu 0xf1ff
	s_delay_alu instid0(VALU_DEP_2) | instskip(SKIP_2) | instid1(VALU_DEP_1)
	v_cndmask_b32_e64 v10, 0x7c00, v10, s0
	v_cmp_eq_u32_e64 s0, 0x40f, v4
	s_wait_alu 0xf1ff
	v_cndmask_b32_e64 v4, v10, v12, s0
	v_lshrrev_b32_e32 v10, 16, v16
	v_add_co_u32 v18, s0, v0, s14
	s_wait_alu 0xf1ff
	v_add_co_ci_u32_e64 v19, s0, s15, v1, s0
	s_delay_alu instid0(VALU_DEP_3) | instskip(NEXT) | instid1(VALU_DEP_1)
	v_and_or_b32 v4, 0x8000, v10, v4
	v_lshl_or_b32 v4, v4, 16, v5
	global_store_b32 v[0:1], v4, off
	ds_load_2addr_b32 v[0:1], v170 offset0:84 offset1:133
	s_wait_dscnt 0x0
	v_lshrrev_b32_e32 v24, 16, v1
	s_wait_loadcnt 0x7
	v_mul_f16_e32 v4, v31, v1
	s_delay_alu instid0(VALU_DEP_1) | instskip(NEXT) | instid1(VALU_DEP_1)
	v_fma_f16 v4, v32, v24, -v4
	v_cvt_f32_f16_e32 v4, v4
	s_delay_alu instid0(VALU_DEP_1) | instskip(NEXT) | instid1(VALU_DEP_1)
	v_cvt_f64_f32_e32 v[4:5], v4
	v_mul_f64_e32 v[20:21], s[10:11], v[4:5]
	s_delay_alu instid0(VALU_DEP_1) | instskip(SKIP_2) | instid1(VALU_DEP_3)
	v_and_or_b32 v4, 0x1ff, v21, v20
	v_lshrrev_b32_e32 v5, 8, v21
	v_bfe_u32 v25, v21, 20, 11
	v_cmp_ne_u32_e64 s0, 0, v4
	s_wait_alu 0xf1ff
	s_delay_alu instid0(VALU_DEP_1) | instskip(NEXT) | instid1(VALU_DEP_1)
	v_cndmask_b32_e64 v4, 0, 1, s0
	v_and_or_b32 v20, 0xffe, v5, v4
	v_sub_nc_u32_e32 v4, 0x3f1, v25
	s_delay_alu instid0(VALU_DEP_2) | instskip(NEXT) | instid1(VALU_DEP_2)
	v_or_b32_e32 v5, 0x1000, v20
	v_med3_i32 v4, v4, 0, 13
	s_delay_alu instid0(VALU_DEP_1) | instskip(NEXT) | instid1(VALU_DEP_1)
	v_lshrrev_b32_e32 v26, v4, v5
	v_lshlrev_b32_e32 v4, v4, v26
	s_delay_alu instid0(VALU_DEP_1)
	v_cmp_ne_u32_e64 s1, v4, v5
	ds_load_2addr_b32 v[4:5], v223 offset0:92 offset1:141
	s_wait_dscnt 0x0
	v_lshrrev_b32_e32 v12, 16, v4
	s_wait_loadcnt 0x1
	v_mul_f16_e32 v9, v29, v4
	s_wait_loadcnt 0x0
	s_delay_alu instid0(VALU_DEP_1) | instskip(NEXT) | instid1(VALU_DEP_1)
	v_fma_f16 v9, v30, v12, -v9
	v_cvt_f32_f16_e32 v9, v9
	s_delay_alu instid0(VALU_DEP_1) | instskip(NEXT) | instid1(VALU_DEP_1)
	v_cvt_f64_f32_e32 v[9:10], v9
	v_mul_f64_e32 v[9:10], s[10:11], v[9:10]
	s_delay_alu instid0(VALU_DEP_1) | instskip(SKIP_1) | instid1(VALU_DEP_2)
	v_and_or_b32 v9, 0x1ff, v10, v9
	v_lshrrev_b32_e32 v16, 8, v10
	v_cmp_ne_u32_e64 s0, 0, v9
	s_wait_alu 0xf1ff
	s_delay_alu instid0(VALU_DEP_1) | instskip(NEXT) | instid1(VALU_DEP_1)
	v_cndmask_b32_e64 v9, 0, 1, s0
	v_and_or_b32 v9, 0xffe, v16, v9
	v_bfe_u32 v16, v10, 20, 11
	s_delay_alu instid0(VALU_DEP_2) | instskip(NEXT) | instid1(VALU_DEP_2)
	v_or_b32_e32 v23, 0x1000, v9
	v_sub_nc_u32_e32 v17, 0x3f1, v16
	v_add_nc_u32_e32 v16, 0xfffffc10, v16
	s_delay_alu instid0(VALU_DEP_2) | instskip(NEXT) | instid1(VALU_DEP_1)
	v_med3_i32 v22, v17, 0, 13
	v_lshrrev_b32_e32 v17, v22, v23
	s_delay_alu instid0(VALU_DEP_1) | instskip(NEXT) | instid1(VALU_DEP_1)
	v_lshlrev_b32_e32 v22, v22, v17
	v_cmp_ne_u32_e64 s0, v22, v23
	v_cvt_f64_f32_e32 v[22:23], v7
	s_delay_alu instid0(VALU_DEP_1) | instskip(NEXT) | instid1(VALU_DEP_1)
	v_mul_f64_e32 v[22:23], s[10:11], v[22:23]
	v_and_or_b32 v7, 0x1ff, v23, v22
	v_lshrrev_b32_e32 v15, 8, v23
	s_delay_alu instid0(VALU_DEP_2) | instskip(SKIP_1) | instid1(VALU_DEP_1)
	v_cmp_ne_u32_e64 s2, 0, v7
	s_wait_alu 0xf1ff
	v_cndmask_b32_e64 v7, 0, 1, s2
	s_delay_alu instid0(VALU_DEP_1) | instskip(SKIP_1) | instid1(VALU_DEP_2)
	v_and_or_b32 v7, 0xffe, v15, v7
	v_bfe_u32 v15, v23, 20, 11
	v_or_b32_e32 v27, 0x1000, v7
	s_delay_alu instid0(VALU_DEP_2) | instskip(SKIP_2) | instid1(VALU_DEP_3)
	v_sub_nc_u32_e32 v22, 0x3f1, v15
	v_add_nc_u32_e32 v15, 0xfffffc10, v15
	v_cmp_ne_u32_e64 s3, 0, v7
	v_med3_i32 v22, v22, 0, 13
	s_delay_alu instid0(VALU_DEP_1) | instskip(NEXT) | instid1(VALU_DEP_1)
	v_lshrrev_b32_e32 v28, v22, v27
	v_lshlrev_b32_e32 v22, v22, v28
	s_delay_alu instid0(VALU_DEP_1) | instskip(SKIP_2) | instid1(VALU_DEP_2)
	v_cmp_ne_u32_e64 s2, v22, v27
	v_lshl_or_b32 v27, v15, 12, v7
	s_wait_alu 0xf1ff
	v_cndmask_b32_e64 v22, 0, 1, s2
	v_cmp_gt_i32_e64 s2, 1, v15
	s_delay_alu instid0(VALU_DEP_2) | instskip(SKIP_1) | instid1(VALU_DEP_1)
	v_or_b32_e32 v22, v28, v22
	s_wait_alu 0xf1ff
	v_cndmask_b32_e64 v22, v27, v22, s2
	s_wait_alu 0xfffd
	v_cndmask_b32_e64 v27, 0, 1, vcc_lo
	v_cmp_gt_i32_e32 vcc_lo, 1, v13
	s_delay_alu instid0(VALU_DEP_2) | instskip(SKIP_3) | instid1(VALU_DEP_2)
	v_or_b32_e32 v14, v14, v27
	v_lshl_or_b32 v27, v13, 12, v11
	v_cndmask_b32_e64 v11, 0, 1, s3
	s_wait_alu 0xfffd
	v_cndmask_b32_e32 v14, v27, v14, vcc_lo
	v_and_b32_e32 v27, 7, v22
	s_delay_alu instid0(VALU_DEP_3) | instskip(NEXT) | instid1(VALU_DEP_3)
	v_lshl_or_b32 v11, v11, 9, 0x7c00
	v_and_b32_e32 v7, 7, v14
	s_delay_alu instid0(VALU_DEP_3) | instskip(SKIP_2) | instid1(VALU_DEP_4)
	v_cmp_lt_i32_e32 vcc_lo, 5, v27
	v_cmp_eq_u32_e64 s2, 3, v27
	v_lshrrev_b32_e32 v14, 2, v14
	v_cmp_lt_i32_e64 s4, 5, v7
	v_cmp_eq_u32_e64 s5, 3, v7
	v_lshrrev_b32_e32 v7, 2, v22
	s_or_b32 vcc_lo, s2, vcc_lo
	s_wait_alu 0xfffe
	s_delay_alu instid0(VALU_DEP_1) | instskip(SKIP_2) | instid1(VALU_DEP_2)
	v_add_co_ci_u32_e32 v7, vcc_lo, 0, v7, vcc_lo
	v_cmp_gt_i32_e32 vcc_lo, 31, v15
	s_wait_alu 0xfffd
	v_cndmask_b32_e32 v7, 0x7c00, v7, vcc_lo
	v_cmp_eq_u32_e32 vcc_lo, 0x40f, v15
	v_cndmask_b32_e64 v15, 0, 1, s6
	s_wait_alu 0xfffd
	s_delay_alu instid0(VALU_DEP_3)
	v_cndmask_b32_e32 v7, v7, v11, vcc_lo
	s_or_b32 vcc_lo, s5, s4
	v_lshrrev_b32_e32 v11, 16, v23
	s_wait_alu 0xfffe
	v_add_co_ci_u32_e32 v14, vcc_lo, 0, v14, vcc_lo
	v_cmp_gt_i32_e32 vcc_lo, 31, v13
	v_lshl_or_b32 v15, v15, 9, 0x7c00
	v_and_or_b32 v7, 0x8000, v11, v7
	s_wait_alu 0xfffd
	v_cndmask_b32_e32 v14, 0x7c00, v14, vcc_lo
	v_cmp_eq_u32_e32 vcc_lo, 0x40f, v13
	s_delay_alu instid0(VALU_DEP_3) | instskip(SKIP_1) | instid1(VALU_DEP_3)
	v_and_b32_e32 v7, 0xffff, v7
	s_wait_alu 0xfffd
	v_cndmask_b32_e32 v13, v14, v15, vcc_lo
	s_delay_alu instid0(VALU_DEP_1) | instskip(SKIP_3) | instid1(VALU_DEP_3)
	v_and_or_b32 v2, 0x8000, v2, v13
	v_add_co_u32 v13, vcc_lo, v18, s14
	s_wait_alu 0xfffd
	v_add_co_ci_u32_e32 v14, vcc_lo, s15, v19, vcc_lo
	v_lshl_or_b32 v2, v2, 16, v7
	global_store_b32 v[18:19], v2, off
	v_mul_f16_e32 v2, v31, v24
	scratch_load_b32 v31, off, off offset:332 th:TH_LOAD_LU ; 4-byte Folded Reload
	v_fmac_f16_e32 v2, v32, v1
	scratch_load_b32 v32, off, off offset:340 th:TH_LOAD_LU ; 4-byte Folded Reload
	v_cvt_f32_f16_e32 v1, v2
	s_delay_alu instid0(VALU_DEP_1) | instskip(NEXT) | instid1(VALU_DEP_1)
	v_cvt_f64_f32_e32 v[1:2], v1
	v_mul_f64_e32 v[1:2], s[10:11], v[1:2]
	s_delay_alu instid0(VALU_DEP_1) | instskip(SKIP_1) | instid1(VALU_DEP_2)
	v_and_or_b32 v1, 0x1ff, v2, v1
	v_lshrrev_b32_e32 v7, 8, v2
	v_cmp_ne_u32_e32 vcc_lo, 0, v1
	s_wait_alu 0xfffd
	v_cndmask_b32_e64 v1, 0, 1, vcc_lo
	s_delay_alu instid0(VALU_DEP_1) | instskip(SKIP_2) | instid1(VALU_DEP_3)
	v_and_or_b32 v1, 0xffe, v7, v1
	v_bfe_u32 v7, v2, 20, 11
	v_lshrrev_b32_e32 v2, 16, v2
	v_or_b32_e32 v15, 0x1000, v1
	s_delay_alu instid0(VALU_DEP_3) | instskip(SKIP_2) | instid1(VALU_DEP_3)
	v_sub_nc_u32_e32 v11, 0x3f1, v7
	v_add_nc_u32_e32 v7, 0xfffffc10, v7
	v_cmp_ne_u32_e64 s2, 0, v1
	v_med3_i32 v11, v11, 0, 13
	s_delay_alu instid0(VALU_DEP_1) | instskip(NEXT) | instid1(VALU_DEP_1)
	v_lshrrev_b32_e32 v18, v11, v15
	v_lshlrev_b32_e32 v11, v11, v18
	s_delay_alu instid0(VALU_DEP_1) | instskip(SKIP_4) | instid1(VALU_DEP_2)
	v_cmp_ne_u32_e32 vcc_lo, v11, v15
	v_lshl_or_b32 v15, v7, 12, v1
	s_wait_alu 0xfffd
	v_cndmask_b32_e64 v11, 0, 1, vcc_lo
	v_cmp_gt_i32_e32 vcc_lo, 1, v7
	v_or_b32_e32 v11, v18, v11
	s_wait_alu 0xfffd
	s_delay_alu instid0(VALU_DEP_1) | instskip(SKIP_1) | instid1(VALU_DEP_2)
	v_dual_cndmask_b32 v11, v15, v11 :: v_dual_add_nc_u32 v18, 0xfffffc10, v25
	v_cndmask_b32_e64 v15, 0, 1, s1
	v_lshl_or_b32 v19, v18, 12, v20
	v_cmp_gt_i32_e32 vcc_lo, 1, v18
	s_delay_alu instid0(VALU_DEP_3) | instskip(SKIP_1) | instid1(VALU_DEP_1)
	v_or_b32_e32 v15, v26, v15
	s_wait_alu 0xfffd
	v_cndmask_b32_e32 v15, v19, v15, vcc_lo
	v_and_b32_e32 v19, 7, v11
	s_delay_alu instid0(VALU_DEP_2) | instskip(NEXT) | instid1(VALU_DEP_2)
	v_and_b32_e32 v1, 7, v15
	v_cmp_lt_i32_e32 vcc_lo, 5, v19
	v_cmp_eq_u32_e64 s1, 3, v19
	s_delay_alu instid0(VALU_DEP_3) | instskip(SKIP_2) | instid1(VALU_DEP_4)
	v_cmp_lt_i32_e64 s3, 5, v1
	v_cmp_eq_u32_e64 s4, 3, v1
	v_lshrrev_b32_e32 v1, 2, v11
	s_or_b32 vcc_lo, s1, vcc_lo
	v_cndmask_b32_e64 v11, 0, 1, s2
	s_delay_alu instid0(VALU_DEP_3)
	s_or_b32 s1, s4, s3
	s_wait_alu 0xfffe
	v_add_co_ci_u32_e32 v1, vcc_lo, 0, v1, vcc_lo
	v_cmp_gt_i32_e32 vcc_lo, 31, v7
	v_lshl_or_b32 v11, v11, 9, 0x7c00
	s_wait_alu 0xfffd
	s_delay_alu instid0(VALU_DEP_3) | instskip(SKIP_3) | instid1(VALU_DEP_3)
	v_cndmask_b32_e32 v1, 0x7c00, v1, vcc_lo
	v_cmp_eq_u32_e32 vcc_lo, 0x40f, v7
	v_lshrrev_b32_e32 v7, 2, v15
	s_wait_alu 0xfffd
	v_cndmask_b32_e32 v1, v1, v11, vcc_lo
	v_cmp_ne_u32_e32 vcc_lo, 0, v20
	s_delay_alu instid0(VALU_DEP_3) | instskip(SKIP_1) | instid1(VALU_DEP_4)
	v_add_co_ci_u32_e64 v7, s1, 0, v7, s1
	v_cmp_gt_i32_e64 s1, 31, v18
	v_and_or_b32 v1, 0x8000, v2, v1
	s_wait_alu 0xfffd
	v_cndmask_b32_e64 v11, 0, 1, vcc_lo
	v_cmp_eq_u32_e32 vcc_lo, 0x40f, v18
	s_wait_alu 0xf1ff
	v_cndmask_b32_e64 v7, 0x7c00, v7, s1
	v_and_b32_e32 v1, 0xffff, v1
	v_lshl_or_b32 v11, v11, 9, 0x7c00
	s_wait_alu 0xfffd
	s_delay_alu instid0(VALU_DEP_1) | instskip(SKIP_1) | instid1(VALU_DEP_1)
	v_cndmask_b32_e32 v7, v7, v11, vcc_lo
	v_lshrrev_b32_e32 v11, 16, v21
	v_and_or_b32 v2, 0x8000, v11, v7
	s_delay_alu instid0(VALU_DEP_1)
	v_lshl_or_b32 v1, v2, 16, v1
	global_store_b32 v[13:14], v1, off
	ds_load_2addr_b32 v[1:2], v194 offset0:130 offset1:179
	v_add_co_u32 v13, vcc_lo, v13, s14
	s_wait_alu 0xfffd
	v_add_co_ci_u32_e32 v14, vcc_lo, s15, v14, vcc_lo
	s_wait_dscnt 0x0
	v_lshrrev_b32_e32 v21, 16, v2
	s_wait_loadcnt 0x0
	v_mul_f16_e32 v7, v32, v2
	s_delay_alu instid0(VALU_DEP_1) | instskip(NEXT) | instid1(VALU_DEP_1)
	v_fma_f16 v7, v33, v21, -v7
	v_cvt_f32_f16_e32 v7, v7
	s_delay_alu instid0(VALU_DEP_1) | instskip(NEXT) | instid1(VALU_DEP_1)
	v_cvt_f64_f32_e32 v[18:19], v7
	v_mul_f64_e32 v[19:20], s[10:11], v[18:19]
	scratch_load_b32 v18, off, off offset:336 th:TH_LOAD_LU ; 4-byte Folded Reload
	v_and_or_b32 v7, 0x1ff, v20, v19
	v_lshrrev_b32_e32 v11, 8, v20
	v_bfe_u32 v23, v20, 20, 11
	s_delay_alu instid0(VALU_DEP_3) | instskip(SKIP_2) | instid1(VALU_DEP_1)
	v_cmp_ne_u32_e32 vcc_lo, 0, v7
	s_wait_alu 0xfffd
	v_cndmask_b32_e64 v7, 0, 1, vcc_lo
	v_and_or_b32 v22, 0xffe, v11, v7
	v_sub_nc_u32_e32 v7, 0x3f1, v23
	s_delay_alu instid0(VALU_DEP_2) | instskip(NEXT) | instid1(VALU_DEP_2)
	v_or_b32_e32 v11, 0x1000, v22
	v_med3_i32 v7, v7, 0, 13
	s_delay_alu instid0(VALU_DEP_1) | instskip(NEXT) | instid1(VALU_DEP_1)
	v_lshrrev_b32_e32 v24, v7, v11
	v_lshlrev_b32_e32 v7, v7, v24
	s_delay_alu instid0(VALU_DEP_1) | instskip(SKIP_3) | instid1(VALU_DEP_1)
	v_cmp_ne_u32_e32 vcc_lo, v7, v11
	scratch_load_b32 v11, off, off offset:344 th:TH_LOAD_LU ; 4-byte Folded Reload
	v_lshrrev_b32_e32 v7, 16, v6
	s_wait_loadcnt 0x0
	v_mul_f16_e32 v15, v11, v7
	v_mul_f16_e32 v11, v11, v6
	s_delay_alu instid0(VALU_DEP_2) | instskip(SKIP_1) | instid1(VALU_DEP_3)
	v_fmac_f16_e32 v15, v18, v6
	v_mul_f16_e32 v6, v29, v12
	v_fma_f16 v18, v18, v7, -v11
	s_delay_alu instid0(VALU_DEP_2) | instskip(SKIP_2) | instid1(VALU_DEP_1)
	v_fmac_f16_e32 v6, v30, v4
	scratch_load_b32 v30, off, off offset:328 th:TH_LOAD_LU ; 4-byte Folded Reload
	v_cvt_f32_f16_e32 v4, v6
	v_cvt_f64_f32_e32 v[6:7], v4
	s_delay_alu instid0(VALU_DEP_1) | instskip(NEXT) | instid1(VALU_DEP_1)
	v_mul_f64_e32 v[6:7], s[10:11], v[6:7]
	v_and_or_b32 v4, 0x1ff, v7, v6
	v_lshrrev_b32_e32 v6, 8, v7
	s_delay_alu instid0(VALU_DEP_2) | instskip(SKIP_1) | instid1(VALU_DEP_1)
	v_cmp_ne_u32_e64 s1, 0, v4
	s_wait_alu 0xf1ff
	v_cndmask_b32_e64 v4, 0, 1, s1
	s_delay_alu instid0(VALU_DEP_1) | instskip(SKIP_1) | instid1(VALU_DEP_2)
	v_and_or_b32 v4, 0xffe, v6, v4
	v_bfe_u32 v6, v7, 20, 11
	v_or_b32_e32 v12, 0x1000, v4
	s_delay_alu instid0(VALU_DEP_2) | instskip(SKIP_2) | instid1(VALU_DEP_3)
	v_sub_nc_u32_e32 v11, 0x3f1, v6
	v_add_nc_u32_e32 v6, 0xfffffc10, v6
	v_cmp_ne_u32_e64 s2, 0, v4
	v_med3_i32 v11, v11, 0, 13
	s_delay_alu instid0(VALU_DEP_1) | instskip(NEXT) | instid1(VALU_DEP_1)
	v_lshrrev_b32_e32 v19, v11, v12
	v_lshlrev_b32_e32 v11, v11, v19
	s_delay_alu instid0(VALU_DEP_1) | instskip(SKIP_2) | instid1(VALU_DEP_2)
	v_cmp_ne_u32_e64 s1, v11, v12
	v_lshl_or_b32 v12, v6, 12, v4
	s_wait_alu 0xf1ff
	v_cndmask_b32_e64 v11, 0, 1, s1
	v_cmp_gt_i32_e64 s1, 1, v6
	s_delay_alu instid0(VALU_DEP_2) | instskip(SKIP_1) | instid1(VALU_DEP_1)
	v_or_b32_e32 v11, v19, v11
	s_wait_alu 0xf1ff
	v_cndmask_b32_e64 v11, v12, v11, s1
	v_cndmask_b32_e64 v12, 0, 1, s0
	v_cmp_gt_i32_e64 s0, 1, v16
	s_delay_alu instid0(VALU_DEP_2) | instskip(SKIP_2) | instid1(VALU_DEP_1)
	v_or_b32_e32 v12, v17, v12
	v_lshl_or_b32 v17, v16, 12, v9
	s_wait_alu 0xf1ff
	v_cndmask_b32_e64 v12, v17, v12, s0
	v_and_b32_e32 v17, 7, v11
	s_delay_alu instid0(VALU_DEP_2) | instskip(NEXT) | instid1(VALU_DEP_2)
	v_and_b32_e32 v4, 7, v12
	v_cmp_lt_i32_e64 s0, 5, v17
	v_cmp_eq_u32_e64 s1, 3, v17
	scratch_load_b32 v17, off, off offset:320 th:TH_LOAD_LU ; 4-byte Folded Reload
	v_cmp_lt_i32_e64 s3, 5, v4
	v_cmp_eq_u32_e64 s4, 3, v4
	v_lshrrev_b32_e32 v4, 2, v11
	s_or_b32 s0, s1, s0
	v_cndmask_b32_e64 v11, 0, 1, s2
	s_delay_alu instid0(VALU_DEP_3)
	s_or_b32 s1, s4, s3
	s_wait_alu 0xfffe
	v_add_co_ci_u32_e64 v4, s0, 0, v4, s0
	v_cmp_gt_i32_e64 s0, 31, v6
	v_lshl_or_b32 v11, v11, 9, 0x7c00
	s_wait_alu 0xf1ff
	s_delay_alu instid0(VALU_DEP_2) | instskip(SKIP_4) | instid1(VALU_DEP_3)
	v_cndmask_b32_e64 v4, 0x7c00, v4, s0
	v_cmp_eq_u32_e64 s0, 0x40f, v6
	v_lshrrev_b32_e32 v6, 16, v7
	v_lshrrev_b32_e32 v7, 2, v12
	s_wait_alu 0xf1ff
	v_cndmask_b32_e64 v4, v4, v11, s0
	v_cmp_ne_u32_e64 s0, 0, v9
	s_delay_alu instid0(VALU_DEP_3) | instskip(SKIP_1) | instid1(VALU_DEP_4)
	v_add_co_ci_u32_e64 v7, s1, 0, v7, s1
	v_cmp_gt_i32_e64 s1, 31, v16
	v_and_or_b32 v4, 0x8000, v6, v4
	s_wait_alu 0xf1ff
	v_cndmask_b32_e64 v9, 0, 1, s0
	v_cmp_eq_u32_e64 s0, 0x40f, v16
	scratch_load_b32 v16, off, off offset:324 th:TH_LOAD_LU ; 4-byte Folded Reload
	v_cndmask_b32_e64 v7, 0x7c00, v7, s1
	v_and_b32_e32 v4, 0xffff, v4
	v_lshl_or_b32 v9, v9, 9, 0x7c00
	s_wait_alu 0xf1ff
	s_delay_alu instid0(VALU_DEP_1) | instskip(SKIP_1) | instid1(VALU_DEP_1)
	v_cndmask_b32_e64 v7, v7, v9, s0
	v_lshrrev_b32_e32 v9, 16, v10
	v_and_or_b32 v6, 0x8000, v9, v7
	v_add_co_u32 v9, s0, v13, s14
	s_wait_alu 0xf1ff
	v_add_co_ci_u32_e64 v10, s0, s15, v14, s0
	s_delay_alu instid0(VALU_DEP_3)
	v_lshl_or_b32 v4, v6, 16, v4
	ds_load_2addr_b32 v[6:7], v187 offset0:10 offset1:59
	global_store_b32 v[13:14], v4, off
	s_wait_dscnt 0x0
	v_lshrrev_b32_e32 v25, 16, v6
	v_mul_f16_e32 v4, v31, v6
	s_wait_loadcnt 0x2
	s_delay_alu instid0(VALU_DEP_1) | instskip(NEXT) | instid1(VALU_DEP_1)
	v_fma_f16 v4, v30, v25, -v4
	v_cvt_f32_f16_e32 v4, v4
	s_delay_alu instid0(VALU_DEP_1) | instskip(NEXT) | instid1(VALU_DEP_1)
	v_cvt_f64_f32_e32 v[11:12], v4
	v_mul_f64_e32 v[12:13], s[10:11], v[11:12]
	s_delay_alu instid0(VALU_DEP_1) | instskip(SKIP_3) | instid1(VALU_DEP_4)
	v_and_or_b32 v4, 0x1ff, v13, v12
	v_lshrrev_b32_e32 v11, 8, v13
	v_bfe_u32 v27, v13, 20, 11
	v_lshrrev_b32_e32 v13, 16, v13
	v_cmp_ne_u32_e64 s0, 0, v4
	s_wait_alu 0xf1ff
	s_delay_alu instid0(VALU_DEP_1) | instskip(NEXT) | instid1(VALU_DEP_1)
	v_cndmask_b32_e64 v4, 0, 1, s0
	v_and_or_b32 v26, 0xffe, v11, v4
	v_sub_nc_u32_e32 v4, 0x3f1, v27
	s_delay_alu instid0(VALU_DEP_2) | instskip(NEXT) | instid1(VALU_DEP_2)
	v_or_b32_e32 v11, 0x1000, v26
	v_med3_i32 v4, v4, 0, 13
	s_delay_alu instid0(VALU_DEP_1) | instskip(NEXT) | instid1(VALU_DEP_1)
	v_lshrrev_b32_e32 v28, v4, v11
	v_lshlrev_b32_e32 v4, v4, v28
	s_delay_alu instid0(VALU_DEP_1) | instskip(SKIP_1) | instid1(VALU_DEP_1)
	v_cmp_ne_u32_e64 s1, v4, v11
	v_cvt_f32_f16_e32 v4, v18
	v_cvt_f64_f32_e32 v[11:12], v4
	s_delay_alu instid0(VALU_DEP_1) | instskip(NEXT) | instid1(VALU_DEP_1)
	v_mul_f64_e32 v[11:12], s[10:11], v[11:12]
	v_and_or_b32 v4, 0x1ff, v12, v11
	v_lshrrev_b32_e32 v11, 8, v12
	v_bfe_u32 v18, v12, 20, 11
	v_lshrrev_b32_e32 v12, 16, v12
	s_delay_alu instid0(VALU_DEP_4) | instskip(SKIP_1) | instid1(VALU_DEP_1)
	v_cmp_ne_u32_e64 s0, 0, v4
	s_wait_alu 0xf1ff
	v_cndmask_b32_e64 v4, 0, 1, s0
	s_delay_alu instid0(VALU_DEP_1) | instskip(SKIP_1) | instid1(VALU_DEP_2)
	v_and_or_b32 v4, 0xffe, v11, v4
	v_sub_nc_u32_e32 v11, 0x3f1, v18
	v_or_b32_e32 v14, 0x1000, v4
	s_delay_alu instid0(VALU_DEP_2) | instskip(NEXT) | instid1(VALU_DEP_1)
	v_med3_i32 v11, v11, 0, 13
	v_lshrrev_b32_e32 v19, v11, v14
	s_delay_alu instid0(VALU_DEP_1) | instskip(NEXT) | instid1(VALU_DEP_1)
	v_lshlrev_b32_e32 v11, v11, v19
	v_cmp_ne_u32_e64 s0, v11, v14
	v_lshrrev_b32_e32 v11, 16, v8
	s_wait_loadcnt 0x0
	s_delay_alu instid0(VALU_DEP_1) | instskip(SKIP_1) | instid1(VALU_DEP_2)
	v_mul_f16_e32 v14, v16, v11
	v_mul_f16_e32 v16, v16, v8
	v_fmac_f16_e32 v14, v17, v8
	v_mul_f16_e32 v8, v32, v21
	s_delay_alu instid0(VALU_DEP_3) | instskip(SKIP_4) | instid1(VALU_DEP_1)
	v_fma_f16 v29, v17, v11, -v16
	scratch_load_b32 v32, off, off offset:300 th:TH_LOAD_LU ; 4-byte Folded Reload
	v_fmac_f16_e32 v8, v33, v2
	scratch_load_b32 v33, off, off offset:312 th:TH_LOAD_LU ; 4-byte Folded Reload
	v_cvt_f32_f16_e32 v2, v8
	v_cvt_f64_f32_e32 v[16:17], v2
	s_delay_alu instid0(VALU_DEP_1) | instskip(NEXT) | instid1(VALU_DEP_1)
	v_mul_f64_e32 v[16:17], s[10:11], v[16:17]
	v_and_or_b32 v2, 0x1ff, v17, v16
	v_lshrrev_b32_e32 v8, 8, v17
	s_delay_alu instid0(VALU_DEP_2) | instskip(SKIP_1) | instid1(VALU_DEP_1)
	v_cmp_ne_u32_e64 s2, 0, v2
	s_wait_alu 0xf1ff
	v_cndmask_b32_e64 v2, 0, 1, s2
	s_delay_alu instid0(VALU_DEP_1) | instskip(SKIP_1) | instid1(VALU_DEP_2)
	v_and_or_b32 v2, 0xffe, v8, v2
	v_bfe_u32 v8, v17, 20, 11
	v_or_b32_e32 v16, 0x1000, v2
	s_delay_alu instid0(VALU_DEP_2) | instskip(SKIP_1) | instid1(VALU_DEP_2)
	v_sub_nc_u32_e32 v11, 0x3f1, v8
	v_add_nc_u32_e32 v8, 0xfffffc10, v8
	v_med3_i32 v11, v11, 0, 13
	s_delay_alu instid0(VALU_DEP_1) | instskip(NEXT) | instid1(VALU_DEP_1)
	v_lshrrev_b32_e32 v21, v11, v16
	v_lshlrev_b32_e32 v11, v11, v21
	s_delay_alu instid0(VALU_DEP_1) | instskip(SKIP_2) | instid1(VALU_DEP_2)
	v_cmp_ne_u32_e64 s2, v11, v16
	v_lshl_or_b32 v16, v8, 12, v2
	s_wait_alu 0xf1ff
	v_cndmask_b32_e64 v11, 0, 1, s2
	v_cmp_gt_i32_e64 s2, 1, v8
	s_delay_alu instid0(VALU_DEP_2) | instskip(SKIP_1) | instid1(VALU_DEP_1)
	v_or_b32_e32 v11, v21, v11
	s_wait_alu 0xf1ff
	v_cndmask_b32_e64 v11, v16, v11, s2
	s_delay_alu instid0(VALU_DEP_1) | instskip(SKIP_1) | instid1(VALU_DEP_2)
	v_and_b32_e32 v16, 7, v11
	v_lshrrev_b32_e32 v11, 2, v11
	v_cmp_lt_i32_e64 s2, 5, v16
	v_cmp_eq_u32_e64 s3, 3, v16
	s_wait_alu 0xfffd
	v_cndmask_b32_e64 v16, 0, 1, vcc_lo
	v_cmp_ne_u32_e32 vcc_lo, 0, v2
	v_add_nc_u32_e32 v2, 0xfffffc10, v23
	s_or_b32 s2, s3, s2
	s_delay_alu instid0(VALU_DEP_3)
	v_or_b32_e32 v16, v24, v16
	s_wait_alu 0xfffe
	v_add_co_ci_u32_e64 v11, s2, 0, v11, s2
	v_lshl_or_b32 v21, v2, 12, v22
	v_cmp_gt_i32_e64 s4, 1, v2
	v_cmp_gt_i32_e64 s2, 31, v8
	v_cmp_ne_u32_e64 s3, 0, v22
	s_delay_alu instid0(VALU_DEP_3)
	v_cndmask_b32_e64 v16, v21, v16, s4
	s_wait_alu 0xfffd
	v_cndmask_b32_e64 v21, 0, 1, vcc_lo
	s_wait_alu 0xf1ff
	v_cndmask_b32_e64 v11, 0x7c00, v11, s2
	v_cmp_eq_u32_e32 vcc_lo, 0x40f, v8
	s_delay_alu instid0(VALU_DEP_3) | instskip(SKIP_1) | instid1(VALU_DEP_1)
	v_lshl_or_b32 v21, v21, 9, 0x7c00
	s_wait_alu 0xfffd
	v_cndmask_b32_e32 v8, v11, v21, vcc_lo
	v_lshrrev_b32_e32 v11, 16, v17
	v_and_b32_e32 v17, 7, v16
	v_lshrrev_b32_e32 v16, 2, v16
	s_delay_alu instid0(VALU_DEP_3) | instskip(NEXT) | instid1(VALU_DEP_3)
	v_and_or_b32 v8, 0x8000, v11, v8
	v_cmp_lt_i32_e32 vcc_lo, 5, v17
	v_cmp_eq_u32_e64 s2, 3, v17
	v_cndmask_b32_e64 v17, 0, 1, s3
	s_delay_alu instid0(VALU_DEP_4) | instskip(NEXT) | instid1(VALU_DEP_3)
	v_and_b32_e32 v8, 0xffff, v8
	s_or_b32 vcc_lo, s2, vcc_lo
	s_delay_alu instid0(VALU_DEP_2) | instskip(SKIP_4) | instid1(VALU_DEP_2)
	v_lshl_or_b32 v17, v17, 9, 0x7c00
	s_wait_alu 0xfffe
	v_add_co_ci_u32_e32 v16, vcc_lo, 0, v16, vcc_lo
	v_cmp_gt_i32_e32 vcc_lo, 31, v2
	s_wait_alu 0xfffd
	v_cndmask_b32_e32 v16, 0x7c00, v16, vcc_lo
	v_cmp_eq_u32_e32 vcc_lo, 0x40f, v2
	s_wait_alu 0xfffd
	s_delay_alu instid0(VALU_DEP_2) | instskip(SKIP_4) | instid1(VALU_DEP_3)
	v_cndmask_b32_e32 v2, v16, v17, vcc_lo
	v_lshrrev_b32_e32 v16, 16, v20
	v_add_co_u32 v21, vcc_lo, v9, s14
	s_wait_alu 0xfffd
	v_add_co_ci_u32_e32 v22, vcc_lo, s15, v10, vcc_lo
	v_and_or_b32 v2, 0x8000, v16, v2
	s_delay_alu instid0(VALU_DEP_1)
	v_lshl_or_b32 v2, v2, 16, v8
	global_store_b32 v[9:10], v2, off
	ds_load_2addr_b32 v[8:9], v252 offset0:136 offset1:185
	s_wait_dscnt 0x0
	v_lshrrev_b32_e32 v20, 16, v8
	v_mul_f16_e32 v2, v34, v8
	s_wait_loadcnt 0x0
	s_delay_alu instid0(VALU_DEP_1)
	v_fma_f16 v2, v33, v20, -v2
	v_mul_f16_e32 v20, v34, v20
	scratch_load_b32 v34, off, off offset:268 th:TH_LOAD_LU ; 4-byte Folded Reload
	v_cvt_f32_f16_e32 v2, v2
	v_fmac_f16_e32 v20, v33, v8
	scratch_load_b32 v33, off, off offset:264 th:TH_LOAD_LU ; 4-byte Folded Reload
	v_cvt_f64_f32_e32 v[10:11], v2
	v_cvt_f32_f16_e32 v8, v20
	s_delay_alu instid0(VALU_DEP_2) | instskip(NEXT) | instid1(VALU_DEP_1)
	v_mul_f64_e32 v[10:11], s[10:11], v[10:11]
	v_and_or_b32 v2, 0x1ff, v11, v10
	v_lshrrev_b32_e32 v10, 8, v11
	v_bfe_u32 v16, v11, 20, 11
	s_delay_alu instid0(VALU_DEP_3) | instskip(SKIP_2) | instid1(VALU_DEP_1)
	v_cmp_ne_u32_e32 vcc_lo, 0, v2
	s_wait_alu 0xfffd
	v_cndmask_b32_e64 v2, 0, 1, vcc_lo
	v_and_or_b32 v10, 0xffe, v10, v2
	v_sub_nc_u32_e32 v2, 0x3f1, v16
	v_add_nc_u32_e32 v16, 0xfffffc10, v16
	s_delay_alu instid0(VALU_DEP_3) | instskip(NEXT) | instid1(VALU_DEP_3)
	v_or_b32_e32 v23, 0x1000, v10
	v_med3_i32 v2, v2, 0, 13
	s_delay_alu instid0(VALU_DEP_1) | instskip(NEXT) | instid1(VALU_DEP_1)
	v_lshrrev_b32_e32 v17, v2, v23
	v_lshlrev_b32_e32 v2, v2, v17
	s_delay_alu instid0(VALU_DEP_1) | instskip(SKIP_3) | instid1(VALU_DEP_1)
	v_cmp_ne_u32_e32 vcc_lo, v2, v23
	v_mul_f16_e32 v2, v31, v25
	scratch_load_b32 v31, off, off offset:296 th:TH_LOAD_LU ; 4-byte Folded Reload
	v_fmac_f16_e32 v2, v30, v6
	v_cvt_f32_f16_e32 v2, v2
	s_delay_alu instid0(VALU_DEP_1) | instskip(NEXT) | instid1(VALU_DEP_1)
	v_cvt_f64_f32_e32 v[23:24], v2
	v_mul_f64_e32 v[23:24], s[10:11], v[23:24]
	s_delay_alu instid0(VALU_DEP_1) | instskip(SKIP_1) | instid1(VALU_DEP_2)
	v_and_or_b32 v2, 0x1ff, v24, v23
	v_lshrrev_b32_e32 v6, 8, v24
	v_cmp_ne_u32_e64 s2, 0, v2
	s_wait_alu 0xf1ff
	s_delay_alu instid0(VALU_DEP_1) | instskip(NEXT) | instid1(VALU_DEP_1)
	v_cndmask_b32_e64 v2, 0, 1, s2
	v_and_or_b32 v2, 0xffe, v6, v2
	v_bfe_u32 v6, v24, 20, 11
	s_delay_alu instid0(VALU_DEP_2) | instskip(NEXT) | instid1(VALU_DEP_2)
	v_or_b32_e32 v25, 0x1000, v2
	v_sub_nc_u32_e32 v23, 0x3f1, v6
	v_add_nc_u32_e32 v6, 0xfffffc10, v6
	s_delay_alu instid0(VALU_DEP_2) | instskip(NEXT) | instid1(VALU_DEP_1)
	v_med3_i32 v23, v23, 0, 13
	v_lshrrev_b32_e32 v30, v23, v25
	s_delay_alu instid0(VALU_DEP_1) | instskip(NEXT) | instid1(VALU_DEP_1)
	v_lshlrev_b32_e32 v23, v23, v30
	v_cmp_ne_u32_e64 s2, v23, v25
	v_lshl_or_b32 v25, v6, 12, v2
	s_wait_alu 0xf1ff
	s_delay_alu instid0(VALU_DEP_2) | instskip(SKIP_1) | instid1(VALU_DEP_2)
	v_cndmask_b32_e64 v23, 0, 1, s2
	v_cmp_gt_i32_e64 s2, 1, v6
	v_or_b32_e32 v23, v30, v23
	s_wait_alu 0xf1ff
	s_delay_alu instid0(VALU_DEP_1) | instskip(NEXT) | instid1(VALU_DEP_1)
	v_cndmask_b32_e64 v23, v25, v23, s2
	v_and_b32_e32 v25, 7, v23
	v_lshrrev_b32_e32 v23, 2, v23
	s_delay_alu instid0(VALU_DEP_2) | instskip(SKIP_4) | instid1(VALU_DEP_4)
	v_cmp_lt_i32_e64 s2, 5, v25
	v_cmp_eq_u32_e64 s3, 3, v25
	v_cndmask_b32_e64 v25, 0, 1, s1
	v_cmp_ne_u32_e64 s1, 0, v2
	v_add_nc_u32_e32 v2, 0xfffffc10, v27
	s_or_b32 s2, s3, s2
	s_delay_alu instid0(VALU_DEP_3)
	v_or_b32_e32 v25, v28, v25
	s_wait_alu 0xfffe
	v_add_co_ci_u32_e64 v23, s2, 0, v23, s2
	v_lshl_or_b32 v27, v2, 12, v26
	v_cmp_gt_i32_e64 s4, 1, v2
	v_cmp_gt_i32_e64 s2, 31, v6
	v_cmp_ne_u32_e64 s3, 0, v26
	s_wait_alu 0xf1ff
	s_delay_alu instid0(VALU_DEP_3) | instskip(SKIP_3) | instid1(VALU_DEP_3)
	v_cndmask_b32_e64 v25, v27, v25, s4
	v_cndmask_b32_e64 v27, 0, 1, s1
	;; [unrolled: 1-line block ×3, first 2 shown]
	v_cmp_eq_u32_e64 s1, 0x40f, v6
	v_lshl_or_b32 v27, v27, 9, 0x7c00
	s_wait_alu 0xf1ff
	s_delay_alu instid0(VALU_DEP_1) | instskip(SKIP_2) | instid1(VALU_DEP_2)
	v_cndmask_b32_e64 v6, v23, v27, s1
	v_lshrrev_b32_e32 v23, 16, v24
	v_and_b32_e32 v24, 7, v25
	v_and_or_b32 v6, 0x8000, v23, v6
	s_delay_alu instid0(VALU_DEP_2) | instskip(SKIP_4) | instid1(VALU_DEP_4)
	v_cmp_lt_i32_e64 s1, 5, v24
	v_cmp_eq_u32_e64 s2, 3, v24
	v_lshrrev_b32_e32 v24, 2, v25
	v_cndmask_b32_e64 v25, 0, 1, s3
	v_and_b32_e32 v6, 0xffff, v6
	s_or_b32 s1, s2, s1
	s_wait_alu 0xfffe
	v_add_co_ci_u32_e64 v24, s1, 0, v24, s1
	v_cmp_gt_i32_e64 s1, 31, v2
	v_lshl_or_b32 v25, v25, 9, 0x7c00
	s_wait_alu 0xf1ff
	s_delay_alu instid0(VALU_DEP_2) | instskip(SKIP_2) | instid1(VALU_DEP_1)
	v_cndmask_b32_e64 v24, 0x7c00, v24, s1
	v_cmp_eq_u32_e64 s1, 0x40f, v2
	s_wait_alu 0xf1ff
	v_cndmask_b32_e64 v2, v24, v25, s1
	s_delay_alu instid0(VALU_DEP_1) | instskip(NEXT) | instid1(VALU_DEP_1)
	v_and_or_b32 v2, 0x8000, v13, v2
	v_lshl_or_b32 v2, v2, 16, v6
	global_store_b32 v[21:22], v2, off
	v_cvt_f32_f16_e32 v2, v15
	v_add_co_u32 v21, s1, v21, s8
	s_wait_alu 0xf1ff
	v_add_co_ci_u32_e64 v22, s1, s9, v22, s1
	s_delay_alu instid0(VALU_DEP_3) | instskip(NEXT) | instid1(VALU_DEP_1)
	v_cvt_f64_f32_e32 v[23:24], v2
	v_mul_f64_e32 v[23:24], s[10:11], v[23:24]
	s_delay_alu instid0(VALU_DEP_1) | instskip(SKIP_1) | instid1(VALU_DEP_2)
	v_and_or_b32 v2, 0x1ff, v24, v23
	v_lshrrev_b32_e32 v6, 8, v24
	v_cmp_ne_u32_e64 s1, 0, v2
	s_wait_alu 0xf1ff
	s_delay_alu instid0(VALU_DEP_1) | instskip(NEXT) | instid1(VALU_DEP_1)
	v_cndmask_b32_e64 v2, 0, 1, s1
	v_and_or_b32 v2, 0xffe, v6, v2
	v_bfe_u32 v6, v24, 20, 11
	s_delay_alu instid0(VALU_DEP_2) | instskip(NEXT) | instid1(VALU_DEP_2)
	v_or_b32_e32 v15, 0x1000, v2
	v_sub_nc_u32_e32 v13, 0x3f1, v6
	v_add_nc_u32_e32 v6, 0xfffffc10, v6
	s_delay_alu instid0(VALU_DEP_2) | instskip(NEXT) | instid1(VALU_DEP_1)
	v_med3_i32 v13, v13, 0, 13
	v_lshrrev_b32_e32 v23, v13, v15
	s_delay_alu instid0(VALU_DEP_1) | instskip(NEXT) | instid1(VALU_DEP_1)
	v_lshlrev_b32_e32 v13, v13, v23
	v_cmp_ne_u32_e64 s1, v13, v15
	v_lshl_or_b32 v15, v6, 12, v2
	s_wait_alu 0xf1ff
	s_delay_alu instid0(VALU_DEP_2) | instskip(SKIP_1) | instid1(VALU_DEP_2)
	v_cndmask_b32_e64 v13, 0, 1, s1
	v_cmp_gt_i32_e64 s1, 1, v6
	v_or_b32_e32 v13, v23, v13
	s_wait_alu 0xf1ff
	s_delay_alu instid0(VALU_DEP_1) | instskip(NEXT) | instid1(VALU_DEP_1)
	v_cndmask_b32_e64 v13, v15, v13, s1
	v_and_b32_e32 v15, 7, v13
	v_lshrrev_b32_e32 v13, 2, v13
	s_delay_alu instid0(VALU_DEP_2) | instskip(SKIP_4) | instid1(VALU_DEP_4)
	v_cmp_lt_i32_e64 s1, 5, v15
	v_cmp_eq_u32_e64 s2, 3, v15
	v_cndmask_b32_e64 v15, 0, 1, s0
	v_cmp_ne_u32_e64 s0, 0, v2
	v_add_nc_u32_e32 v2, 0xfffffc10, v18
	s_or_b32 s1, s2, s1
	s_delay_alu instid0(VALU_DEP_3)
	v_or_b32_e32 v15, v19, v15
	s_wait_alu 0xfffe
	v_add_co_ci_u32_e64 v13, s1, 0, v13, s1
	v_lshl_or_b32 v18, v2, 12, v4
	v_cmp_gt_i32_e64 s3, 1, v2
	v_cmp_gt_i32_e64 s1, 31, v6
	v_cmp_ne_u32_e64 s2, 0, v4
	v_lshrrev_b32_e32 v4, 16, v24
	s_wait_alu 0xf1ff
	v_cndmask_b32_e64 v15, v18, v15, s3
	v_cndmask_b32_e64 v18, 0, 1, s0
	;; [unrolled: 1-line block ×3, first 2 shown]
	v_cmp_eq_u32_e64 s0, 0x40f, v6
	s_delay_alu instid0(VALU_DEP_3) | instskip(SKIP_1) | instid1(VALU_DEP_1)
	v_lshl_or_b32 v18, v18, 9, 0x7c00
	s_wait_alu 0xf1ff
	v_cndmask_b32_e64 v6, v13, v18, s0
	v_and_b32_e32 v13, 7, v15
	s_delay_alu instid0(VALU_DEP_2) | instskip(NEXT) | instid1(VALU_DEP_2)
	v_and_or_b32 v4, 0x8000, v4, v6
	v_cmp_lt_i32_e64 s0, 5, v13
	v_cmp_eq_u32_e64 s1, 3, v13
	v_lshrrev_b32_e32 v13, 2, v15
	v_cndmask_b32_e64 v15, 0, 1, s2
	v_and_b32_e32 v4, 0xffff, v4
	scratch_load_b32 v6, off, off offset:308 th:TH_LOAD_LU ; 4-byte Folded Reload
	s_or_b32 s0, s1, s0
	s_wait_alu 0xfffe
	v_add_co_ci_u32_e64 v13, s0, 0, v13, s0
	v_cmp_gt_i32_e64 s0, 31, v2
	v_lshl_or_b32 v15, v15, 9, 0x7c00
	s_wait_alu 0xf1ff
	s_delay_alu instid0(VALU_DEP_2) | instskip(SKIP_2) | instid1(VALU_DEP_1)
	v_cndmask_b32_e64 v13, 0x7c00, v13, s0
	v_cmp_eq_u32_e64 s0, 0x40f, v2
	s_wait_alu 0xf1ff
	v_cndmask_b32_e64 v2, v13, v15, s0
	s_delay_alu instid0(VALU_DEP_1) | instskip(NEXT) | instid1(VALU_DEP_1)
	v_and_or_b32 v2, 0x8000, v12, v2
	v_lshl_or_b32 v2, v2, 16, v4
	global_store_b32 v[21:22], v2, off
	v_cvt_f32_f16_e32 v2, v29
	v_add_co_u32 v21, s0, v21, s14
	s_wait_alu 0xf1ff
	v_add_co_ci_u32_e64 v22, s0, s15, v22, s0
	s_delay_alu instid0(VALU_DEP_3) | instskip(NEXT) | instid1(VALU_DEP_1)
	v_cvt_f64_f32_e32 v[12:13], v2
	v_mul_f64_e32 v[23:24], s[10:11], v[12:13]
	scratch_load_b32 v12, off, off offset:304 th:TH_LOAD_LU ; 4-byte Folded Reload
	v_and_or_b32 v2, 0x1ff, v24, v23
	v_lshrrev_b32_e32 v4, 8, v24
	v_bfe_u32 v27, v24, 20, 11
	s_delay_alu instid0(VALU_DEP_3) | instskip(SKIP_1) | instid1(VALU_DEP_1)
	v_cmp_ne_u32_e64 s0, 0, v2
	s_wait_alu 0xf1ff
	v_cndmask_b32_e64 v2, 0, 1, s0
	s_delay_alu instid0(VALU_DEP_1) | instskip(SKIP_1) | instid1(VALU_DEP_2)
	v_and_or_b32 v23, 0xffe, v4, v2
	v_sub_nc_u32_e32 v2, 0x3f1, v27
	v_or_b32_e32 v4, 0x1000, v23
	s_delay_alu instid0(VALU_DEP_2) | instskip(NEXT) | instid1(VALU_DEP_1)
	v_med3_i32 v2, v2, 0, 13
	v_lshrrev_b32_e32 v28, v2, v4
	s_delay_alu instid0(VALU_DEP_1) | instskip(NEXT) | instid1(VALU_DEP_1)
	v_lshlrev_b32_e32 v2, v2, v28
	v_cmp_ne_u32_e64 s1, v2, v4
	v_lshrrev_b32_e32 v4, 16, v5
	s_wait_loadcnt 0x1
	s_delay_alu instid0(VALU_DEP_1) | instskip(SKIP_2) | instid1(VALU_DEP_2)
	v_mul_f16_e32 v2, v6, v4
	v_mul_f16_e32 v6, v6, v5
	s_wait_loadcnt 0x0
	v_fmac_f16_e32 v2, v12, v5
	s_delay_alu instid0(VALU_DEP_2)
	v_fma_f16 v15, v12, v4, -v6
	ds_load_2addr_b32 v[4:5], v208 offset0:54 offset1:103
	v_cvt_f32_f16_e32 v2, v2
	s_wait_dscnt 0x0
	v_lshrrev_b32_e32 v18, 16, v4
	v_mul_f16_e32 v6, v32, v4
	s_delay_alu instid0(VALU_DEP_1) | instskip(NEXT) | instid1(VALU_DEP_1)
	v_fma_f16 v6, v31, v18, -v6
	v_cvt_f32_f16_e32 v6, v6
	s_delay_alu instid0(VALU_DEP_1) | instskip(NEXT) | instid1(VALU_DEP_1)
	v_cvt_f64_f32_e32 v[12:13], v6
	v_mul_f64_e32 v[12:13], s[10:11], v[12:13]
	s_delay_alu instid0(VALU_DEP_1) | instskip(SKIP_1) | instid1(VALU_DEP_2)
	v_and_or_b32 v6, 0x1ff, v13, v12
	v_lshrrev_b32_e32 v12, 8, v13
	v_cmp_ne_u32_e64 s0, 0, v6
	s_wait_alu 0xf1ff
	s_delay_alu instid0(VALU_DEP_1) | instskip(NEXT) | instid1(VALU_DEP_1)
	v_cndmask_b32_e64 v6, 0, 1, s0
	v_and_or_b32 v6, 0xffe, v12, v6
	v_bfe_u32 v12, v13, 20, 11
	s_delay_alu instid0(VALU_DEP_2) | instskip(NEXT) | instid1(VALU_DEP_2)
	v_or_b32_e32 v26, 0x1000, v6
	v_sub_nc_u32_e32 v19, 0x3f1, v12
	v_add_nc_u32_e32 v12, 0xfffffc10, v12
	s_delay_alu instid0(VALU_DEP_2) | instskip(NEXT) | instid1(VALU_DEP_1)
	v_med3_i32 v25, v19, 0, 13
	v_lshrrev_b32_e32 v19, v25, v26
	s_delay_alu instid0(VALU_DEP_1) | instskip(NEXT) | instid1(VALU_DEP_1)
	v_lshlrev_b32_e32 v25, v25, v19
	v_cmp_ne_u32_e64 s0, v25, v26
	v_cvt_f64_f32_e32 v[25:26], v8
	s_delay_alu instid0(VALU_DEP_1) | instskip(NEXT) | instid1(VALU_DEP_1)
	v_mul_f64_e32 v[25:26], s[10:11], v[25:26]
	v_and_or_b32 v8, 0x1ff, v26, v25
	v_lshrrev_b32_e32 v20, 8, v26
	s_delay_alu instid0(VALU_DEP_2) | instskip(SKIP_1) | instid1(VALU_DEP_1)
	v_cmp_ne_u32_e64 s2, 0, v8
	s_wait_alu 0xf1ff
	v_cndmask_b32_e64 v8, 0, 1, s2
	s_delay_alu instid0(VALU_DEP_1) | instskip(SKIP_1) | instid1(VALU_DEP_2)
	v_and_or_b32 v8, 0xffe, v20, v8
	v_bfe_u32 v20, v26, 20, 11
	v_or_b32_e32 v29, 0x1000, v8
	s_delay_alu instid0(VALU_DEP_2) | instskip(SKIP_2) | instid1(VALU_DEP_3)
	v_sub_nc_u32_e32 v25, 0x3f1, v20
	v_add_nc_u32_e32 v20, 0xfffffc10, v20
	v_cmp_ne_u32_e64 s4, 0, v8
	v_med3_i32 v25, v25, 0, 13
	s_delay_alu instid0(VALU_DEP_1) | instskip(NEXT) | instid1(VALU_DEP_1)
	v_lshrrev_b32_e32 v30, v25, v29
	v_lshlrev_b32_e32 v25, v25, v30
	s_delay_alu instid0(VALU_DEP_1)
	v_cmp_ne_u32_e64 s2, v25, v29
	v_lshl_or_b32 v29, v20, 12, v8
	s_wait_alu 0xfffd
	v_cndmask_b32_e64 v8, 0, 1, vcc_lo
	v_cmp_gt_i32_e32 vcc_lo, 1, v16
	s_wait_alu 0xf1ff
	v_cndmask_b32_e64 v25, 0, 1, s2
	v_cmp_gt_i32_e64 s2, 1, v20
	v_or_b32_e32 v8, v17, v8
	v_lshl_or_b32 v17, v16, 12, v10
	s_delay_alu instid0(VALU_DEP_4)
	v_or_b32_e32 v25, v30, v25
	scratch_load_b32 v30, off, off offset:280 th:TH_LOAD_LU ; 4-byte Folded Reload
	s_wait_alu 0xfffd
	v_cndmask_b32_e32 v8, v17, v8, vcc_lo
	s_wait_alu 0xf1ff
	v_cndmask_b32_e64 v25, v29, v25, s2
	s_delay_alu instid0(VALU_DEP_1) | instskip(SKIP_2) | instid1(VALU_DEP_3)
	v_and_b32_e32 v29, 7, v25
	v_lshrrev_b32_e32 v17, 2, v25
	v_cndmask_b32_e64 v25, 0, 1, s4
	v_cmp_lt_i32_e64 s2, 5, v29
	v_cmp_eq_u32_e64 s3, 3, v29
	s_delay_alu instid0(VALU_DEP_3) | instskip(NEXT) | instid1(VALU_DEP_2)
	v_lshl_or_b32 v25, v25, 9, 0x7c00
	s_or_b32 vcc_lo, s3, s2
	v_cmp_ne_u32_e64 s3, 0, v10
	s_wait_alu 0xfffe
	v_add_co_ci_u32_e32 v17, vcc_lo, 0, v17, vcc_lo
	v_cmp_gt_i32_e32 vcc_lo, 31, v20
	s_wait_alu 0xf1ff
	v_cndmask_b32_e64 v10, 0, 1, s3
	s_wait_alu 0xfffd
	v_cndmask_b32_e32 v17, 0x7c00, v17, vcc_lo
	v_cmp_eq_u32_e32 vcc_lo, 0x40f, v20
	v_lshrrev_b32_e32 v20, 16, v26
	v_lshl_or_b32 v10, v10, 9, 0x7c00
	s_wait_alu 0xfffd
	v_cndmask_b32_e32 v17, v17, v25, vcc_lo
	v_and_b32_e32 v25, 7, v8
	v_lshrrev_b32_e32 v8, 2, v8
	s_delay_alu instid0(VALU_DEP_2) | instskip(SKIP_1) | instid1(VALU_DEP_1)
	v_cmp_lt_i32_e32 vcc_lo, 5, v25
	v_cmp_eq_u32_e64 s2, 3, v25
	s_or_b32 vcc_lo, s2, vcc_lo
	s_wait_alu 0xfffe
	v_add_co_ci_u32_e32 v8, vcc_lo, 0, v8, vcc_lo
	v_cmp_gt_i32_e32 vcc_lo, 31, v16
	s_wait_alu 0xfffd
	s_delay_alu instid0(VALU_DEP_2) | instskip(SKIP_2) | instid1(VALU_DEP_2)
	v_cndmask_b32_e32 v8, 0x7c00, v8, vcc_lo
	v_cmp_eq_u32_e32 vcc_lo, 0x40f, v16
	s_wait_alu 0xfffd
	v_cndmask_b32_e32 v8, v8, v10, vcc_lo
	v_lshrrev_b32_e32 v10, 16, v11
	v_and_or_b32 v11, 0x8000, v20, v17
	s_delay_alu instid0(VALU_DEP_2) | instskip(NEXT) | instid1(VALU_DEP_2)
	v_and_or_b32 v8, 0x8000, v10, v8
	v_and_b32_e32 v10, 0xffff, v11
	s_delay_alu instid0(VALU_DEP_1)
	v_lshl_or_b32 v8, v8, 16, v10
	v_add_co_u32 v10, vcc_lo, v21, s14
	s_wait_alu 0xfffd
	v_add_co_ci_u32_e32 v11, vcc_lo, s15, v22, vcc_lo
	global_store_b32 v[21:22], v8, off
	v_cvt_f32_f16_e32 v8, v14
	s_delay_alu instid0(VALU_DEP_1) | instskip(NEXT) | instid1(VALU_DEP_1)
	v_cvt_f64_f32_e32 v[16:17], v8
	v_mul_f64_e32 v[16:17], s[10:11], v[16:17]
	s_delay_alu instid0(VALU_DEP_1) | instskip(SKIP_1) | instid1(VALU_DEP_2)
	v_and_or_b32 v8, 0x1ff, v17, v16
	v_lshrrev_b32_e32 v14, 8, v17
	v_cmp_ne_u32_e32 vcc_lo, 0, v8
	s_wait_alu 0xfffd
	v_cndmask_b32_e64 v8, 0, 1, vcc_lo
	s_delay_alu instid0(VALU_DEP_1) | instskip(SKIP_1) | instid1(VALU_DEP_2)
	v_and_or_b32 v8, 0xffe, v14, v8
	v_bfe_u32 v14, v17, 20, 11
	v_or_b32_e32 v20, 0x1000, v8
	s_delay_alu instid0(VALU_DEP_2) | instskip(SKIP_2) | instid1(VALU_DEP_3)
	v_sub_nc_u32_e32 v16, 0x3f1, v14
	v_add_nc_u32_e32 v14, 0xfffffc10, v14
	v_cmp_ne_u32_e64 s2, 0, v8
	v_med3_i32 v16, v16, 0, 13
	s_delay_alu instid0(VALU_DEP_1) | instskip(NEXT) | instid1(VALU_DEP_1)
	v_lshrrev_b32_e32 v21, v16, v20
	v_lshlrev_b32_e32 v16, v16, v21
	s_delay_alu instid0(VALU_DEP_1) | instskip(SKIP_4) | instid1(VALU_DEP_2)
	v_cmp_ne_u32_e32 vcc_lo, v16, v20
	v_lshl_or_b32 v20, v14, 12, v8
	s_wait_alu 0xfffd
	v_cndmask_b32_e64 v16, 0, 1, vcc_lo
	v_cmp_gt_i32_e32 vcc_lo, 1, v14
	v_or_b32_e32 v16, v21, v16
	s_wait_alu 0xfffd
	s_delay_alu instid0(VALU_DEP_1) | instskip(SKIP_1) | instid1(VALU_DEP_2)
	v_dual_cndmask_b32 v16, v20, v16 :: v_dual_add_nc_u32 v21, 0xfffffc10, v27
	v_cndmask_b32_e64 v20, 0, 1, s1
	v_lshl_or_b32 v22, v21, 12, v23
	v_cmp_gt_i32_e32 vcc_lo, 1, v21
	s_delay_alu instid0(VALU_DEP_3) | instskip(SKIP_1) | instid1(VALU_DEP_1)
	v_or_b32_e32 v20, v28, v20
	s_wait_alu 0xfffd
	v_cndmask_b32_e32 v20, v22, v20, vcc_lo
	v_and_b32_e32 v22, 7, v16
	s_delay_alu instid0(VALU_DEP_2) | instskip(NEXT) | instid1(VALU_DEP_2)
	v_and_b32_e32 v8, 7, v20
	v_cmp_lt_i32_e32 vcc_lo, 5, v22
	v_cmp_eq_u32_e64 s1, 3, v22
	s_delay_alu instid0(VALU_DEP_3) | instskip(SKIP_2) | instid1(VALU_DEP_4)
	v_cmp_lt_i32_e64 s3, 5, v8
	v_cmp_eq_u32_e64 s4, 3, v8
	v_lshrrev_b32_e32 v8, 2, v16
	s_or_b32 vcc_lo, s1, vcc_lo
	v_cndmask_b32_e64 v16, 0, 1, s2
	s_delay_alu instid0(VALU_DEP_3)
	s_or_b32 s1, s4, s3
	s_wait_alu 0xfffe
	v_add_co_ci_u32_e32 v8, vcc_lo, 0, v8, vcc_lo
	v_cmp_gt_i32_e32 vcc_lo, 31, v14
	v_lshl_or_b32 v16, v16, 9, 0x7c00
	s_wait_alu 0xfffd
	s_delay_alu instid0(VALU_DEP_3) | instskip(SKIP_3) | instid1(VALU_DEP_3)
	v_cndmask_b32_e32 v8, 0x7c00, v8, vcc_lo
	v_cmp_eq_u32_e32 vcc_lo, 0x40f, v14
	v_lshrrev_b32_e32 v14, 16, v17
	s_wait_alu 0xfffd
	v_cndmask_b32_e32 v8, v8, v16, vcc_lo
	v_lshrrev_b32_e32 v16, 2, v20
	v_cmp_ne_u32_e32 vcc_lo, 0, v23
	scratch_load_b32 v20, off, off offset:288 th:TH_LOAD_LU ; 4-byte Folded Reload
	v_and_or_b32 v8, 0x8000, v14, v8
	v_add_co_ci_u32_e64 v16, s1, 0, v16, s1
	v_cmp_gt_i32_e64 s1, 31, v21
	s_wait_alu 0xfffd
	v_cndmask_b32_e64 v17, 0, 1, vcc_lo
	v_cmp_eq_u32_e32 vcc_lo, 0x40f, v21
	v_and_b32_e32 v8, 0xffff, v8
	s_wait_alu 0xf1ff
	v_cndmask_b32_e64 v16, 0x7c00, v16, s1
	v_lshl_or_b32 v17, v17, 9, 0x7c00
	s_wait_alu 0xfffd
	s_delay_alu instid0(VALU_DEP_1) | instskip(SKIP_1) | instid1(VALU_DEP_1)
	v_cndmask_b32_e32 v16, v16, v17, vcc_lo
	v_lshrrev_b32_e32 v17, 16, v24
	v_and_or_b32 v14, 0x8000, v17, v16
	s_delay_alu instid0(VALU_DEP_1)
	v_lshl_or_b32 v8, v14, 16, v8
	global_store_b32 v[10:11], v8, off
	v_cvt_f32_f16_e32 v8, v15
	v_add_co_u32 v10, vcc_lo, v10, s14
	s_wait_alu 0xfffd
	v_add_co_ci_u32_e32 v11, vcc_lo, s15, v11, vcc_lo
	s_delay_alu instid0(VALU_DEP_3) | instskip(NEXT) | instid1(VALU_DEP_1)
	v_cvt_f64_f32_e32 v[14:15], v8
	v_mul_f64_e32 v[15:16], s[10:11], v[14:15]
	s_delay_alu instid0(VALU_DEP_1) | instskip(SKIP_2) | instid1(VALU_DEP_3)
	v_and_or_b32 v8, 0x1ff, v16, v15
	v_lshrrev_b32_e32 v14, 8, v16
	v_bfe_u32 v23, v16, 20, 11
	v_cmp_ne_u32_e32 vcc_lo, 0, v8
	s_wait_alu 0xfffd
	v_cndmask_b32_e64 v8, 0, 1, vcc_lo
	s_delay_alu instid0(VALU_DEP_1) | instskip(SKIP_1) | instid1(VALU_DEP_2)
	v_and_or_b32 v17, 0xffe, v14, v8
	v_sub_nc_u32_e32 v8, 0x3f1, v23
	v_or_b32_e32 v14, 0x1000, v17
	s_delay_alu instid0(VALU_DEP_2) | instskip(NEXT) | instid1(VALU_DEP_1)
	v_med3_i32 v8, v8, 0, 13
	v_lshrrev_b32_e32 v24, v8, v14
	s_delay_alu instid0(VALU_DEP_1) | instskip(NEXT) | instid1(VALU_DEP_1)
	v_lshlrev_b32_e32 v8, v8, v24
	v_cmp_ne_u32_e32 vcc_lo, v8, v14
	scratch_load_b32 v14, off, off offset:292 th:TH_LOAD_LU ; 4-byte Folded Reload
	v_lshrrev_b32_e32 v8, 16, v7
	s_wait_loadcnt 0x0
	s_delay_alu instid0(VALU_DEP_1) | instskip(SKIP_1) | instid1(VALU_DEP_2)
	v_mul_f16_e32 v15, v14, v8
	v_mul_f16_e32 v14, v14, v7
	v_fmac_f16_e32 v15, v20, v7
	v_mul_f16_e32 v7, v32, v18
	s_delay_alu instid0(VALU_DEP_3) | instskip(SKIP_4) | instid1(VALU_DEP_1)
	v_fma_f16 v14, v20, v8, -v14
	scratch_load_b32 v32, off, off offset:252 th:TH_LOAD_LU ; 4-byte Folded Reload
	v_fmac_f16_e32 v7, v31, v4
	scratch_load_b32 v31, off, off offset:284 th:TH_LOAD_LU ; 4-byte Folded Reload
	v_cvt_f32_f16_e32 v4, v7
	v_cvt_f64_f32_e32 v[7:8], v4
	s_delay_alu instid0(VALU_DEP_1) | instskip(NEXT) | instid1(VALU_DEP_1)
	v_mul_f64_e32 v[7:8], s[10:11], v[7:8]
	v_and_or_b32 v4, 0x1ff, v8, v7
	v_lshrrev_b32_e32 v7, 8, v8
	s_delay_alu instid0(VALU_DEP_2) | instskip(SKIP_1) | instid1(VALU_DEP_1)
	v_cmp_ne_u32_e64 s1, 0, v4
	s_wait_alu 0xf1ff
	v_cndmask_b32_e64 v4, 0, 1, s1
	s_delay_alu instid0(VALU_DEP_1) | instskip(SKIP_1) | instid1(VALU_DEP_2)
	v_and_or_b32 v4, 0xffe, v7, v4
	v_bfe_u32 v7, v8, 20, 11
	v_or_b32_e32 v20, 0x1000, v4
	s_delay_alu instid0(VALU_DEP_2) | instskip(SKIP_2) | instid1(VALU_DEP_3)
	v_sub_nc_u32_e32 v18, 0x3f1, v7
	v_add_nc_u32_e32 v7, 0xfffffc10, v7
	v_cmp_ne_u32_e64 s2, 0, v4
	v_med3_i32 v18, v18, 0, 13
	s_delay_alu instid0(VALU_DEP_1) | instskip(NEXT) | instid1(VALU_DEP_1)
	v_lshrrev_b32_e32 v21, v18, v20
	v_lshlrev_b32_e32 v18, v18, v21
	s_delay_alu instid0(VALU_DEP_1) | instskip(SKIP_2) | instid1(VALU_DEP_2)
	v_cmp_ne_u32_e64 s1, v18, v20
	v_lshl_or_b32 v20, v7, 12, v4
	s_wait_alu 0xf1ff
	v_cndmask_b32_e64 v18, 0, 1, s1
	v_cmp_gt_i32_e64 s1, 1, v7
	s_delay_alu instid0(VALU_DEP_2) | instskip(SKIP_1) | instid1(VALU_DEP_1)
	v_or_b32_e32 v18, v21, v18
	s_wait_alu 0xf1ff
	v_cndmask_b32_e64 v18, v20, v18, s1
	v_cndmask_b32_e64 v20, 0, 1, s0
	v_cmp_gt_i32_e64 s0, 1, v12
	s_delay_alu instid0(VALU_DEP_2) | instskip(SKIP_2) | instid1(VALU_DEP_1)
	v_or_b32_e32 v19, v19, v20
	v_lshl_or_b32 v20, v12, 12, v6
	s_wait_alu 0xf1ff
	v_cndmask_b32_e64 v19, v20, v19, s0
	v_and_b32_e32 v20, 7, v18
	s_delay_alu instid0(VALU_DEP_2) | instskip(NEXT) | instid1(VALU_DEP_2)
	v_and_b32_e32 v4, 7, v19
	v_cmp_lt_i32_e64 s0, 5, v20
	v_cmp_eq_u32_e64 s1, 3, v20
	s_delay_alu instid0(VALU_DEP_3) | instskip(SKIP_2) | instid1(VALU_DEP_4)
	v_cmp_lt_i32_e64 s3, 5, v4
	v_cmp_eq_u32_e64 s4, 3, v4
	v_lshrrev_b32_e32 v4, 2, v18
	s_or_b32 s0, s1, s0
	v_cndmask_b32_e64 v18, 0, 1, s2
	s_delay_alu instid0(VALU_DEP_3)
	s_or_b32 s1, s4, s3
	s_wait_alu 0xfffe
	v_add_co_ci_u32_e64 v4, s0, 0, v4, s0
	v_cmp_gt_i32_e64 s0, 31, v7
	v_lshl_or_b32 v18, v18, 9, 0x7c00
	s_wait_alu 0xf1ff
	s_delay_alu instid0(VALU_DEP_2) | instskip(SKIP_3) | instid1(VALU_DEP_2)
	v_cndmask_b32_e64 v4, 0x7c00, v4, s0
	v_cmp_eq_u32_e64 s0, 0x40f, v7
	v_lshrrev_b32_e32 v7, 2, v19
	s_wait_alu 0xf1ff
	v_cndmask_b32_e64 v4, v4, v18, s0
	v_cmp_ne_u32_e64 s0, 0, v6
	s_delay_alu instid0(VALU_DEP_3)
	v_add_co_ci_u32_e64 v7, s1, 0, v7, s1
	v_lshrrev_b32_e32 v6, 16, v8
	v_cmp_gt_i32_e64 s1, 31, v12
	s_wait_alu 0xf1ff
	v_cndmask_b32_e64 v8, 0, 1, s0
	v_cmp_eq_u32_e64 s0, 0x40f, v12
	v_and_or_b32 v4, 0x8000, v6, v4
	v_cndmask_b32_e64 v7, 0x7c00, v7, s1
	s_delay_alu instid0(VALU_DEP_4) | instskip(NEXT) | instid1(VALU_DEP_3)
	v_lshl_or_b32 v8, v8, 9, 0x7c00
	v_and_b32_e32 v4, 0xffff, v4
	s_wait_alu 0xf1ff
	s_delay_alu instid0(VALU_DEP_2) | instskip(SKIP_4) | instid1(VALU_DEP_3)
	v_cndmask_b32_e64 v7, v7, v8, s0
	v_lshrrev_b32_e32 v8, 16, v13
	v_add_co_u32 v19, s0, v10, s14
	s_wait_alu 0xf1ff
	v_add_co_ci_u32_e64 v20, s0, s15, v11, s0
	v_and_or_b32 v6, 0x8000, v8, v7
	s_delay_alu instid0(VALU_DEP_1)
	v_lshl_or_b32 v4, v6, 16, v4
	ds_load_2addr_b32 v[6:7], v246 offset0:100 offset1:149
	global_store_b32 v[10:11], v4, off
	s_wait_dscnt 0x0
	v_lshrrev_b32_e32 v25, 16, v6
	s_wait_loadcnt 0x0
	v_mul_f16_e32 v4, v31, v6
	s_delay_alu instid0(VALU_DEP_1) | instskip(NEXT) | instid1(VALU_DEP_1)
	v_fma_f16 v4, v30, v25, -v4
	v_cvt_f32_f16_e32 v4, v4
	s_delay_alu instid0(VALU_DEP_1) | instskip(NEXT) | instid1(VALU_DEP_1)
	v_cvt_f64_f32_e32 v[10:11], v4
	v_mul_f64_e32 v[21:22], s[10:11], v[10:11]
	s_delay_alu instid0(VALU_DEP_1) | instskip(SKIP_2) | instid1(VALU_DEP_3)
	v_and_or_b32 v4, 0x1ff, v22, v21
	v_lshrrev_b32_e32 v8, 8, v22
	v_bfe_u32 v27, v22, 20, 11
	v_cmp_ne_u32_e64 s0, 0, v4
	s_wait_alu 0xf1ff
	s_delay_alu instid0(VALU_DEP_1) | instskip(NEXT) | instid1(VALU_DEP_1)
	v_cndmask_b32_e64 v4, 0, 1, s0
	v_and_or_b32 v26, 0xffe, v8, v4
	v_sub_nc_u32_e32 v4, 0x3f1, v27
	s_delay_alu instid0(VALU_DEP_2) | instskip(NEXT) | instid1(VALU_DEP_2)
	v_or_b32_e32 v8, 0x1000, v26
	v_med3_i32 v4, v4, 0, 13
	s_delay_alu instid0(VALU_DEP_1) | instskip(NEXT) | instid1(VALU_DEP_1)
	v_lshrrev_b32_e32 v28, v4, v8
	v_lshlrev_b32_e32 v4, v4, v28
	s_delay_alu instid0(VALU_DEP_1) | instskip(SKIP_1) | instid1(VALU_DEP_1)
	v_cmp_ne_u32_e64 s1, v4, v8
	v_cvt_f32_f16_e32 v4, v14
	v_cvt_f64_f32_e32 v[10:11], v4
	s_delay_alu instid0(VALU_DEP_1) | instskip(NEXT) | instid1(VALU_DEP_1)
	v_mul_f64_e32 v[11:12], s[10:11], v[10:11]
	v_and_or_b32 v4, 0x1ff, v12, v11
	v_lshrrev_b32_e32 v8, 8, v12
	v_bfe_u32 v13, v12, 20, 11
	scratch_load_b32 v11, off, off offset:272 th:TH_LOAD_LU ; 4-byte Folded Reload
	v_lshrrev_b32_e32 v12, 16, v12
	v_cmp_ne_u32_e64 s0, 0, v4
	s_wait_alu 0xf1ff
	s_delay_alu instid0(VALU_DEP_1) | instskip(NEXT) | instid1(VALU_DEP_1)
	v_cndmask_b32_e64 v4, 0, 1, s0
	v_and_or_b32 v4, 0xffe, v8, v4
	v_sub_nc_u32_e32 v8, 0x3f1, v13
	s_delay_alu instid0(VALU_DEP_2) | instskip(NEXT) | instid1(VALU_DEP_2)
	v_or_b32_e32 v10, 0x1000, v4
	v_med3_i32 v8, v8, 0, 13
	s_delay_alu instid0(VALU_DEP_1) | instskip(NEXT) | instid1(VALU_DEP_1)
	v_lshrrev_b32_e32 v18, v8, v10
	v_lshlrev_b32_e32 v8, v8, v18
	s_delay_alu instid0(VALU_DEP_1) | instskip(SKIP_3) | instid1(VALU_DEP_1)
	v_cmp_ne_u32_e64 s0, v8, v10
	scratch_load_b32 v10, off, off offset:276 th:TH_LOAD_LU ; 4-byte Folded Reload
	v_lshrrev_b32_e32 v8, 16, v9
	s_wait_loadcnt 0x0
	v_mul_f16_e32 v14, v10, v8
	v_mul_f16_e32 v10, v10, v9
	s_delay_alu instid0(VALU_DEP_2) | instskip(NEXT) | instid1(VALU_DEP_2)
	v_fmac_f16_e32 v14, v11, v9
	v_fma_f16 v29, v11, v8, -v10
	v_cvt_f64_f32_e32 v[8:9], v2
	s_delay_alu instid0(VALU_DEP_1) | instskip(NEXT) | instid1(VALU_DEP_1)
	v_mul_f64_e32 v[8:9], s[10:11], v[8:9]
	v_and_or_b32 v2, 0x1ff, v9, v8
	v_lshrrev_b32_e32 v8, 8, v9
	s_delay_alu instid0(VALU_DEP_2) | instskip(SKIP_1) | instid1(VALU_DEP_1)
	v_cmp_ne_u32_e64 s2, 0, v2
	s_wait_alu 0xf1ff
	v_cndmask_b32_e64 v2, 0, 1, s2
	s_delay_alu instid0(VALU_DEP_1) | instskip(SKIP_2) | instid1(VALU_DEP_3)
	v_and_or_b32 v2, 0xffe, v8, v2
	v_bfe_u32 v8, v9, 20, 11
	v_lshrrev_b32_e32 v9, 16, v9
	v_or_b32_e32 v11, 0x1000, v2
	s_delay_alu instid0(VALU_DEP_3) | instskip(SKIP_1) | instid1(VALU_DEP_2)
	v_sub_nc_u32_e32 v10, 0x3f1, v8
	v_add_nc_u32_e32 v8, 0xfffffc10, v8
	v_med3_i32 v10, v10, 0, 13
	s_delay_alu instid0(VALU_DEP_1) | instskip(NEXT) | instid1(VALU_DEP_1)
	v_lshrrev_b32_e32 v21, v10, v11
	v_lshlrev_b32_e32 v10, v10, v21
	s_delay_alu instid0(VALU_DEP_1) | instskip(SKIP_2) | instid1(VALU_DEP_2)
	v_cmp_ne_u32_e64 s2, v10, v11
	v_lshl_or_b32 v11, v8, 12, v2
	s_wait_alu 0xf1ff
	v_cndmask_b32_e64 v10, 0, 1, s2
	v_cmp_gt_i32_e64 s2, 1, v8
	s_delay_alu instid0(VALU_DEP_2) | instskip(SKIP_1) | instid1(VALU_DEP_1)
	v_or_b32_e32 v10, v21, v10
	s_wait_alu 0xf1ff
	v_cndmask_b32_e64 v10, v11, v10, s2
	s_delay_alu instid0(VALU_DEP_1) | instskip(SKIP_1) | instid1(VALU_DEP_2)
	v_and_b32_e32 v11, 7, v10
	v_lshrrev_b32_e32 v10, 2, v10
	v_cmp_lt_i32_e64 s2, 5, v11
	v_cmp_eq_u32_e64 s3, 3, v11
	s_wait_alu 0xfffd
	v_cndmask_b32_e64 v11, 0, 1, vcc_lo
	v_cmp_ne_u32_e32 vcc_lo, 0, v2
	v_add_nc_u32_e32 v2, 0xfffffc10, v23
	s_or_b32 s2, s3, s2
	s_delay_alu instid0(VALU_DEP_3)
	v_or_b32_e32 v11, v24, v11
	s_wait_alu 0xfffe
	v_add_co_ci_u32_e64 v10, s2, 0, v10, s2
	v_lshl_or_b32 v21, v2, 12, v17
	v_cmp_gt_i32_e64 s4, 1, v2
	v_cmp_gt_i32_e64 s2, 31, v8
	v_cmp_ne_u32_e64 s3, 0, v17
	s_wait_alu 0xf1ff
	s_delay_alu instid0(VALU_DEP_3) | instskip(SKIP_4) | instid1(VALU_DEP_3)
	v_cndmask_b32_e64 v11, v21, v11, s4
	s_wait_alu 0xfffd
	v_cndmask_b32_e64 v21, 0, 1, vcc_lo
	v_cndmask_b32_e64 v10, 0x7c00, v10, s2
	v_cmp_eq_u32_e32 vcc_lo, 0x40f, v8
	v_lshl_or_b32 v21, v21, 9, 0x7c00
	s_wait_alu 0xfffd
	s_delay_alu instid0(VALU_DEP_1) | instskip(SKIP_1) | instid1(VALU_DEP_2)
	v_cndmask_b32_e32 v8, v10, v21, vcc_lo
	v_and_b32_e32 v10, 7, v11
	v_and_or_b32 v8, 0x8000, v9, v8
	s_delay_alu instid0(VALU_DEP_2) | instskip(SKIP_4) | instid1(VALU_DEP_4)
	v_cmp_lt_i32_e32 vcc_lo, 5, v10
	v_cmp_eq_u32_e64 s2, 3, v10
	v_lshrrev_b32_e32 v10, 2, v11
	v_cndmask_b32_e64 v11, 0, 1, s3
	v_and_b32_e32 v8, 0xffff, v8
	s_or_b32 vcc_lo, s2, vcc_lo
	s_wait_alu 0xfffe
	v_add_co_ci_u32_e32 v10, vcc_lo, 0, v10, vcc_lo
	v_cmp_gt_i32_e32 vcc_lo, 31, v2
	v_lshl_or_b32 v11, v11, 9, 0x7c00
	s_wait_alu 0xfffd
	s_delay_alu instid0(VALU_DEP_3) | instskip(SKIP_2) | instid1(VALU_DEP_2)
	v_cndmask_b32_e32 v10, 0x7c00, v10, vcc_lo
	v_cmp_eq_u32_e32 vcc_lo, 0x40f, v2
	s_wait_alu 0xfffd
	v_cndmask_b32_e32 v2, v10, v11, vcc_lo
	v_lshrrev_b32_e32 v10, 16, v16
	v_add_co_u32 v23, vcc_lo, v19, s14
	s_wait_alu 0xfffd
	v_add_co_ci_u32_e32 v24, vcc_lo, s15, v20, vcc_lo
	s_delay_alu instid0(VALU_DEP_3) | instskip(NEXT) | instid1(VALU_DEP_1)
	v_and_or_b32 v2, 0x8000, v10, v2
	v_lshl_or_b32 v2, v2, 16, v8
	ds_load_2addr_b32 v[8:9], v152 offset0:98 offset1:147
	global_store_b32 v[19:20], v2, off
	s_wait_dscnt 0x0
	v_lshrrev_b32_e32 v19, 16, v8
	v_mul_f16_e32 v2, v34, v8
	s_delay_alu instid0(VALU_DEP_1)
	v_fma_f16 v2, v33, v19, -v2
	v_mul_f16_e32 v19, v34, v19
	scratch_load_b32 v34, off, off offset:220 th:TH_LOAD_LU ; 4-byte Folded Reload
	v_cvt_f32_f16_e32 v2, v2
	v_fmac_f16_e32 v19, v33, v8
	scratch_load_b32 v33, off, off offset:216 th:TH_LOAD_LU ; 4-byte Folded Reload
	v_cvt_f64_f32_e32 v[10:11], v2
	v_cvt_f32_f16_e32 v8, v19
	s_delay_alu instid0(VALU_DEP_2) | instskip(NEXT) | instid1(VALU_DEP_1)
	v_mul_f64_e32 v[10:11], s[10:11], v[10:11]
	v_and_or_b32 v2, 0x1ff, v11, v10
	v_lshrrev_b32_e32 v10, 8, v11
	v_bfe_u32 v16, v11, 20, 11
	s_delay_alu instid0(VALU_DEP_3) | instskip(SKIP_2) | instid1(VALU_DEP_1)
	v_cmp_ne_u32_e32 vcc_lo, 0, v2
	s_wait_alu 0xfffd
	v_cndmask_b32_e64 v2, 0, 1, vcc_lo
	v_and_or_b32 v10, 0xffe, v10, v2
	v_sub_nc_u32_e32 v2, 0x3f1, v16
	v_add_nc_u32_e32 v16, 0xfffffc10, v16
	s_delay_alu instid0(VALU_DEP_3) | instskip(NEXT) | instid1(VALU_DEP_3)
	v_or_b32_e32 v20, 0x1000, v10
	v_med3_i32 v2, v2, 0, 13
	s_delay_alu instid0(VALU_DEP_1) | instskip(NEXT) | instid1(VALU_DEP_1)
	v_lshrrev_b32_e32 v17, v2, v20
	v_lshlrev_b32_e32 v2, v2, v17
	s_delay_alu instid0(VALU_DEP_1) | instskip(SKIP_3) | instid1(VALU_DEP_1)
	v_cmp_ne_u32_e32 vcc_lo, v2, v20
	v_mul_f16_e32 v2, v31, v25
	scratch_load_b32 v31, off, off offset:248 th:TH_LOAD_LU ; 4-byte Folded Reload
	v_fmac_f16_e32 v2, v30, v6
	v_cvt_f32_f16_e32 v2, v2
	s_delay_alu instid0(VALU_DEP_1) | instskip(NEXT) | instid1(VALU_DEP_1)
	v_cvt_f64_f32_e32 v[20:21], v2
	v_mul_f64_e32 v[20:21], s[10:11], v[20:21]
	s_delay_alu instid0(VALU_DEP_1) | instskip(SKIP_1) | instid1(VALU_DEP_2)
	v_and_or_b32 v2, 0x1ff, v21, v20
	v_lshrrev_b32_e32 v6, 8, v21
	v_cmp_ne_u32_e64 s2, 0, v2
	s_wait_alu 0xf1ff
	s_delay_alu instid0(VALU_DEP_1) | instskip(NEXT) | instid1(VALU_DEP_1)
	v_cndmask_b32_e64 v2, 0, 1, s2
	v_and_or_b32 v2, 0xffe, v6, v2
	v_bfe_u32 v6, v21, 20, 11
	s_delay_alu instid0(VALU_DEP_2) | instskip(NEXT) | instid1(VALU_DEP_2)
	v_or_b32_e32 v25, 0x1000, v2
	v_sub_nc_u32_e32 v20, 0x3f1, v6
	v_add_nc_u32_e32 v6, 0xfffffc10, v6
	s_delay_alu instid0(VALU_DEP_2) | instskip(NEXT) | instid1(VALU_DEP_1)
	v_med3_i32 v20, v20, 0, 13
	v_lshrrev_b32_e32 v30, v20, v25
	s_delay_alu instid0(VALU_DEP_1) | instskip(NEXT) | instid1(VALU_DEP_1)
	v_lshlrev_b32_e32 v20, v20, v30
	v_cmp_ne_u32_e64 s2, v20, v25
	v_lshl_or_b32 v25, v6, 12, v2
	s_wait_alu 0xf1ff
	s_delay_alu instid0(VALU_DEP_2) | instskip(SKIP_1) | instid1(VALU_DEP_2)
	v_cndmask_b32_e64 v20, 0, 1, s2
	v_cmp_gt_i32_e64 s2, 1, v6
	v_or_b32_e32 v20, v30, v20
	s_wait_alu 0xf1ff
	s_delay_alu instid0(VALU_DEP_1) | instskip(NEXT) | instid1(VALU_DEP_1)
	v_cndmask_b32_e64 v20, v25, v20, s2
	v_and_b32_e32 v25, 7, v20
	v_lshrrev_b32_e32 v20, 2, v20
	s_delay_alu instid0(VALU_DEP_2) | instskip(SKIP_4) | instid1(VALU_DEP_4)
	v_cmp_lt_i32_e64 s2, 5, v25
	v_cmp_eq_u32_e64 s3, 3, v25
	v_cndmask_b32_e64 v25, 0, 1, s1
	v_cmp_ne_u32_e64 s1, 0, v2
	v_add_nc_u32_e32 v2, 0xfffffc10, v27
	s_or_b32 s2, s3, s2
	s_delay_alu instid0(VALU_DEP_3)
	v_or_b32_e32 v25, v28, v25
	s_wait_alu 0xfffe
	v_add_co_ci_u32_e64 v20, s2, 0, v20, s2
	v_lshl_or_b32 v27, v2, 12, v26
	v_cmp_gt_i32_e64 s4, 1, v2
	v_cmp_gt_i32_e64 s2, 31, v6
	v_cmp_ne_u32_e64 s3, 0, v26
	s_wait_alu 0xf1ff
	s_delay_alu instid0(VALU_DEP_3) | instskip(SKIP_3) | instid1(VALU_DEP_3)
	v_cndmask_b32_e64 v25, v27, v25, s4
	v_cndmask_b32_e64 v27, 0, 1, s1
	;; [unrolled: 1-line block ×3, first 2 shown]
	v_cmp_eq_u32_e64 s1, 0x40f, v6
	v_lshl_or_b32 v27, v27, 9, 0x7c00
	s_wait_alu 0xf1ff
	s_delay_alu instid0(VALU_DEP_1) | instskip(SKIP_2) | instid1(VALU_DEP_2)
	v_cndmask_b32_e64 v6, v20, v27, s1
	v_lshrrev_b32_e32 v20, 16, v21
	v_and_b32_e32 v21, 7, v25
	v_and_or_b32 v6, 0x8000, v20, v6
	s_delay_alu instid0(VALU_DEP_2) | instskip(SKIP_4) | instid1(VALU_DEP_4)
	v_cmp_lt_i32_e64 s1, 5, v21
	v_cmp_eq_u32_e64 s2, 3, v21
	v_lshrrev_b32_e32 v21, 2, v25
	v_cndmask_b32_e64 v25, 0, 1, s3
	v_and_b32_e32 v6, 0xffff, v6
	s_or_b32 s1, s2, s1
	s_wait_alu 0xfffe
	v_add_co_ci_u32_e64 v21, s1, 0, v21, s1
	v_cmp_gt_i32_e64 s1, 31, v2
	v_lshl_or_b32 v25, v25, 9, 0x7c00
	s_wait_alu 0xf1ff
	s_delay_alu instid0(VALU_DEP_2) | instskip(SKIP_2) | instid1(VALU_DEP_1)
	v_cndmask_b32_e64 v21, 0x7c00, v21, s1
	v_cmp_eq_u32_e64 s1, 0x40f, v2
	s_wait_alu 0xf1ff
	v_cndmask_b32_e64 v2, v21, v25, s1
	v_lshrrev_b32_e32 v21, 16, v22
	v_add_co_u32 v20, s1, v23, s14
	s_delay_alu instid0(VALU_DEP_2) | instskip(SKIP_2) | instid1(VALU_DEP_2)
	v_and_or_b32 v2, 0x8000, v21, v2
	s_wait_alu 0xf1ff
	v_add_co_ci_u32_e64 v21, s1, s15, v24, s1
	v_lshl_or_b32 v2, v2, 16, v6
	global_store_b32 v[23:24], v2, off
	v_cvt_f32_f16_e32 v2, v15
	s_delay_alu instid0(VALU_DEP_1) | instskip(NEXT) | instid1(VALU_DEP_1)
	v_cvt_f64_f32_e32 v[22:23], v2
	v_mul_f64_e32 v[22:23], s[10:11], v[22:23]
	s_delay_alu instid0(VALU_DEP_1) | instskip(SKIP_1) | instid1(VALU_DEP_2)
	v_and_or_b32 v2, 0x1ff, v23, v22
	v_lshrrev_b32_e32 v6, 8, v23
	v_cmp_ne_u32_e64 s1, 0, v2
	s_wait_alu 0xf1ff
	s_delay_alu instid0(VALU_DEP_1) | instskip(NEXT) | instid1(VALU_DEP_1)
	v_cndmask_b32_e64 v2, 0, 1, s1
	v_and_or_b32 v2, 0xffe, v6, v2
	v_bfe_u32 v6, v23, 20, 11
	s_delay_alu instid0(VALU_DEP_2) | instskip(NEXT) | instid1(VALU_DEP_2)
	v_or_b32_e32 v22, 0x1000, v2
	v_sub_nc_u32_e32 v15, 0x3f1, v6
	v_add_nc_u32_e32 v6, 0xfffffc10, v6
	s_delay_alu instid0(VALU_DEP_2) | instskip(NEXT) | instid1(VALU_DEP_1)
	v_med3_i32 v15, v15, 0, 13
	v_lshrrev_b32_e32 v24, v15, v22
	s_delay_alu instid0(VALU_DEP_1) | instskip(NEXT) | instid1(VALU_DEP_1)
	v_lshlrev_b32_e32 v15, v15, v24
	v_cmp_ne_u32_e64 s1, v15, v22
	v_lshl_or_b32 v22, v6, 12, v2
	s_wait_alu 0xf1ff
	s_delay_alu instid0(VALU_DEP_2) | instskip(SKIP_1) | instid1(VALU_DEP_2)
	v_cndmask_b32_e64 v15, 0, 1, s1
	v_cmp_gt_i32_e64 s1, 1, v6
	v_or_b32_e32 v15, v24, v15
	s_wait_alu 0xf1ff
	s_delay_alu instid0(VALU_DEP_1) | instskip(NEXT) | instid1(VALU_DEP_1)
	v_cndmask_b32_e64 v15, v22, v15, s1
	v_and_b32_e32 v22, 7, v15
	v_lshrrev_b32_e32 v15, 2, v15
	s_delay_alu instid0(VALU_DEP_2) | instskip(SKIP_4) | instid1(VALU_DEP_4)
	v_cmp_lt_i32_e64 s1, 5, v22
	v_cmp_eq_u32_e64 s2, 3, v22
	v_cndmask_b32_e64 v22, 0, 1, s0
	v_cmp_ne_u32_e64 s0, 0, v2
	v_add_nc_u32_e32 v2, 0xfffffc10, v13
	s_or_b32 s1, s2, s1
	s_delay_alu instid0(VALU_DEP_3)
	v_or_b32_e32 v18, v18, v22
	s_wait_alu 0xfffe
	v_add_co_ci_u32_e64 v15, s1, 0, v15, s1
	v_lshl_or_b32 v13, v2, 12, v4
	v_cmp_gt_i32_e64 s3, 1, v2
	v_cmp_gt_i32_e64 s1, 31, v6
	v_cmp_ne_u32_e64 s2, 0, v4
	v_lshrrev_b32_e32 v4, 16, v23
	s_wait_alu 0xf1ff
	v_cndmask_b32_e64 v13, v13, v18, s3
	v_cndmask_b32_e64 v18, 0, 1, s0
	;; [unrolled: 1-line block ×3, first 2 shown]
	v_cmp_eq_u32_e64 s0, 0x40f, v6
	s_delay_alu instid0(VALU_DEP_3) | instskip(SKIP_1) | instid1(VALU_DEP_1)
	v_lshl_or_b32 v18, v18, 9, 0x7c00
	s_wait_alu 0xf1ff
	v_cndmask_b32_e64 v6, v15, v18, s0
	v_and_b32_e32 v15, 7, v13
	v_lshrrev_b32_e32 v13, 2, v13
	s_delay_alu instid0(VALU_DEP_3) | instskip(NEXT) | instid1(VALU_DEP_3)
	v_and_or_b32 v4, 0x8000, v4, v6
	v_cmp_lt_i32_e64 s0, 5, v15
	v_cmp_eq_u32_e64 s1, 3, v15
	v_cndmask_b32_e64 v15, 0, 1, s2
	scratch_load_b32 v6, off, off offset:260 th:TH_LOAD_LU ; 4-byte Folded Reload
	v_and_b32_e32 v4, 0xffff, v4
	s_or_b32 s0, s1, s0
	v_lshl_or_b32 v15, v15, 9, 0x7c00
	s_wait_alu 0xfffe
	v_add_co_ci_u32_e64 v13, s0, 0, v13, s0
	v_cmp_gt_i32_e64 s0, 31, v2
	s_wait_alu 0xf1ff
	s_delay_alu instid0(VALU_DEP_1) | instskip(SKIP_2) | instid1(VALU_DEP_1)
	v_cndmask_b32_e64 v13, 0x7c00, v13, s0
	v_cmp_eq_u32_e64 s0, 0x40f, v2
	s_wait_alu 0xf1ff
	v_cndmask_b32_e64 v2, v13, v15, s0
	v_add_co_u32 v22, s0, v20, s8
	s_wait_alu 0xf1ff
	v_add_co_ci_u32_e64 v23, s0, s9, v21, s0
	s_delay_alu instid0(VALU_DEP_3) | instskip(NEXT) | instid1(VALU_DEP_1)
	v_and_or_b32 v2, 0x8000, v12, v2
	v_lshl_or_b32 v2, v2, 16, v4
	global_store_b32 v[20:21], v2, off
	v_cvt_f32_f16_e32 v2, v29
	s_delay_alu instid0(VALU_DEP_1) | instskip(NEXT) | instid1(VALU_DEP_1)
	v_cvt_f64_f32_e32 v[12:13], v2
	v_mul_f64_e32 v[20:21], s[10:11], v[12:13]
	scratch_load_b32 v12, off, off offset:256 th:TH_LOAD_LU ; 4-byte Folded Reload
	v_and_or_b32 v2, 0x1ff, v21, v20
	v_lshrrev_b32_e32 v4, 8, v21
	v_bfe_u32 v27, v21, 20, 11
	s_delay_alu instid0(VALU_DEP_3) | instskip(SKIP_1) | instid1(VALU_DEP_1)
	v_cmp_ne_u32_e64 s0, 0, v2
	s_wait_alu 0xf1ff
	v_cndmask_b32_e64 v2, 0, 1, s0
	s_delay_alu instid0(VALU_DEP_1) | instskip(SKIP_1) | instid1(VALU_DEP_2)
	v_and_or_b32 v26, 0xffe, v4, v2
	v_sub_nc_u32_e32 v2, 0x3f1, v27
	v_or_b32_e32 v4, 0x1000, v26
	s_delay_alu instid0(VALU_DEP_2) | instskip(NEXT) | instid1(VALU_DEP_1)
	v_med3_i32 v2, v2, 0, 13
	v_lshrrev_b32_e32 v28, v2, v4
	s_delay_alu instid0(VALU_DEP_1) | instskip(NEXT) | instid1(VALU_DEP_1)
	v_lshlrev_b32_e32 v2, v2, v28
	v_cmp_ne_u32_e64 s1, v2, v4
	v_lshrrev_b32_e32 v4, 16, v5
	s_wait_loadcnt 0x1
	s_delay_alu instid0(VALU_DEP_1) | instskip(SKIP_2) | instid1(VALU_DEP_2)
	v_mul_f16_e32 v2, v6, v4
	v_mul_f16_e32 v6, v6, v5
	s_wait_loadcnt 0x0
	v_fmac_f16_e32 v2, v12, v5
	s_delay_alu instid0(VALU_DEP_2)
	v_fma_f16 v15, v12, v4, -v6
	ds_load_2addr_b32 v[4:5], v195 offset0:16 offset1:65
	v_cvt_f32_f16_e32 v2, v2
	s_wait_dscnt 0x0
	v_lshrrev_b32_e32 v18, 16, v4
	v_mul_f16_e32 v6, v32, v4
	s_delay_alu instid0(VALU_DEP_1) | instskip(NEXT) | instid1(VALU_DEP_1)
	v_fma_f16 v6, v31, v18, -v6
	v_cvt_f32_f16_e32 v6, v6
	s_delay_alu instid0(VALU_DEP_1) | instskip(NEXT) | instid1(VALU_DEP_1)
	v_cvt_f64_f32_e32 v[12:13], v6
	v_mul_f64_e32 v[12:13], s[10:11], v[12:13]
	s_delay_alu instid0(VALU_DEP_1) | instskip(SKIP_1) | instid1(VALU_DEP_2)
	v_and_or_b32 v6, 0x1ff, v13, v12
	v_lshrrev_b32_e32 v12, 8, v13
	v_cmp_ne_u32_e64 s0, 0, v6
	s_wait_alu 0xf1ff
	s_delay_alu instid0(VALU_DEP_1) | instskip(NEXT) | instid1(VALU_DEP_1)
	v_cndmask_b32_e64 v6, 0, 1, s0
	v_and_or_b32 v6, 0xffe, v12, v6
	v_bfe_u32 v12, v13, 20, 11
	s_delay_alu instid0(VALU_DEP_2) | instskip(NEXT) | instid1(VALU_DEP_2)
	v_or_b32_e32 v25, 0x1000, v6
	v_sub_nc_u32_e32 v20, 0x3f1, v12
	v_add_nc_u32_e32 v12, 0xfffffc10, v12
	s_delay_alu instid0(VALU_DEP_2) | instskip(NEXT) | instid1(VALU_DEP_1)
	v_med3_i32 v24, v20, 0, 13
	v_lshrrev_b32_e32 v20, v24, v25
	s_delay_alu instid0(VALU_DEP_1) | instskip(NEXT) | instid1(VALU_DEP_1)
	v_lshlrev_b32_e32 v24, v24, v20
	v_cmp_ne_u32_e64 s0, v24, v25
	v_cvt_f64_f32_e32 v[24:25], v8
	s_delay_alu instid0(VALU_DEP_1) | instskip(NEXT) | instid1(VALU_DEP_1)
	v_mul_f64_e32 v[24:25], s[10:11], v[24:25]
	v_and_or_b32 v8, 0x1ff, v25, v24
	v_lshrrev_b32_e32 v19, 8, v25
	s_delay_alu instid0(VALU_DEP_2) | instskip(SKIP_1) | instid1(VALU_DEP_1)
	v_cmp_ne_u32_e64 s2, 0, v8
	s_wait_alu 0xf1ff
	v_cndmask_b32_e64 v8, 0, 1, s2
	s_delay_alu instid0(VALU_DEP_1) | instskip(SKIP_1) | instid1(VALU_DEP_2)
	v_and_or_b32 v8, 0xffe, v19, v8
	v_bfe_u32 v19, v25, 20, 11
	v_or_b32_e32 v29, 0x1000, v8
	s_delay_alu instid0(VALU_DEP_2) | instskip(SKIP_2) | instid1(VALU_DEP_3)
	v_sub_nc_u32_e32 v24, 0x3f1, v19
	v_add_nc_u32_e32 v19, 0xfffffc10, v19
	v_cmp_ne_u32_e64 s4, 0, v8
	v_med3_i32 v24, v24, 0, 13
	s_delay_alu instid0(VALU_DEP_1) | instskip(NEXT) | instid1(VALU_DEP_1)
	v_lshrrev_b32_e32 v30, v24, v29
	v_lshlrev_b32_e32 v24, v24, v30
	s_delay_alu instid0(VALU_DEP_1)
	v_cmp_ne_u32_e64 s2, v24, v29
	v_lshl_or_b32 v29, v19, 12, v8
	s_wait_alu 0xfffd
	v_cndmask_b32_e64 v8, 0, 1, vcc_lo
	v_cmp_gt_i32_e32 vcc_lo, 1, v16
	s_wait_alu 0xf1ff
	v_cndmask_b32_e64 v24, 0, 1, s2
	v_cmp_gt_i32_e64 s2, 1, v19
	v_or_b32_e32 v8, v17, v8
	v_lshl_or_b32 v17, v16, 12, v10
	s_delay_alu instid0(VALU_DEP_4)
	v_or_b32_e32 v24, v30, v24
	scratch_load_b32 v30, off, off offset:232 th:TH_LOAD_LU ; 4-byte Folded Reload
	s_wait_alu 0xfffd
	v_cndmask_b32_e32 v8, v17, v8, vcc_lo
	s_wait_alu 0xf1ff
	v_cndmask_b32_e64 v24, v29, v24, s2
	s_delay_alu instid0(VALU_DEP_1) | instskip(SKIP_2) | instid1(VALU_DEP_3)
	v_and_b32_e32 v29, 7, v24
	v_lshrrev_b32_e32 v17, 2, v24
	v_cndmask_b32_e64 v24, 0, 1, s4
	v_cmp_lt_i32_e64 s2, 5, v29
	v_cmp_eq_u32_e64 s3, 3, v29
	s_delay_alu instid0(VALU_DEP_3) | instskip(NEXT) | instid1(VALU_DEP_2)
	v_lshl_or_b32 v24, v24, 9, 0x7c00
	s_or_b32 vcc_lo, s3, s2
	v_cmp_ne_u32_e64 s3, 0, v10
	s_wait_alu 0xfffe
	v_add_co_ci_u32_e32 v17, vcc_lo, 0, v17, vcc_lo
	v_cmp_gt_i32_e32 vcc_lo, 31, v19
	s_wait_alu 0xf1ff
	v_cndmask_b32_e64 v10, 0, 1, s3
	s_wait_alu 0xfffd
	v_cndmask_b32_e32 v17, 0x7c00, v17, vcc_lo
	v_cmp_eq_u32_e32 vcc_lo, 0x40f, v19
	v_lshrrev_b32_e32 v19, 16, v25
	v_lshl_or_b32 v10, v10, 9, 0x7c00
	s_wait_alu 0xfffd
	v_cndmask_b32_e32 v17, v17, v24, vcc_lo
	v_and_b32_e32 v24, 7, v8
	v_lshrrev_b32_e32 v8, 2, v8
	s_delay_alu instid0(VALU_DEP_2) | instskip(SKIP_1) | instid1(VALU_DEP_1)
	v_cmp_lt_i32_e32 vcc_lo, 5, v24
	v_cmp_eq_u32_e64 s2, 3, v24
	s_or_b32 vcc_lo, s2, vcc_lo
	s_wait_alu 0xfffe
	v_add_co_ci_u32_e32 v8, vcc_lo, 0, v8, vcc_lo
	v_cmp_gt_i32_e32 vcc_lo, 31, v16
	s_wait_alu 0xfffd
	s_delay_alu instid0(VALU_DEP_2) | instskip(SKIP_2) | instid1(VALU_DEP_2)
	v_cndmask_b32_e32 v8, 0x7c00, v8, vcc_lo
	v_cmp_eq_u32_e32 vcc_lo, 0x40f, v16
	s_wait_alu 0xfffd
	v_cndmask_b32_e32 v8, v8, v10, vcc_lo
	v_lshrrev_b32_e32 v10, 16, v11
	v_and_or_b32 v11, 0x8000, v19, v17
	s_delay_alu instid0(VALU_DEP_2) | instskip(NEXT) | instid1(VALU_DEP_2)
	v_and_or_b32 v8, 0x8000, v10, v8
	v_and_b32_e32 v10, 0xffff, v11
	s_delay_alu instid0(VALU_DEP_1)
	v_lshl_or_b32 v8, v8, 16, v10
	v_add_co_u32 v10, vcc_lo, v22, s14
	s_wait_alu 0xfffd
	v_add_co_ci_u32_e32 v11, vcc_lo, s15, v23, vcc_lo
	global_store_b32 v[22:23], v8, off
	v_cvt_f32_f16_e32 v8, v14
	s_delay_alu instid0(VALU_DEP_1) | instskip(NEXT) | instid1(VALU_DEP_1)
	v_cvt_f64_f32_e32 v[16:17], v8
	v_mul_f64_e32 v[16:17], s[10:11], v[16:17]
	s_delay_alu instid0(VALU_DEP_1) | instskip(SKIP_1) | instid1(VALU_DEP_2)
	v_and_or_b32 v8, 0x1ff, v17, v16
	v_lshrrev_b32_e32 v14, 8, v17
	v_cmp_ne_u32_e32 vcc_lo, 0, v8
	s_wait_alu 0xfffd
	v_cndmask_b32_e64 v8, 0, 1, vcc_lo
	s_delay_alu instid0(VALU_DEP_1) | instskip(SKIP_1) | instid1(VALU_DEP_2)
	v_and_or_b32 v8, 0xffe, v14, v8
	v_bfe_u32 v14, v17, 20, 11
	v_or_b32_e32 v19, 0x1000, v8
	s_delay_alu instid0(VALU_DEP_2) | instskip(SKIP_2) | instid1(VALU_DEP_3)
	v_sub_nc_u32_e32 v16, 0x3f1, v14
	v_add_nc_u32_e32 v14, 0xfffffc10, v14
	v_cmp_ne_u32_e64 s2, 0, v8
	v_med3_i32 v16, v16, 0, 13
	s_delay_alu instid0(VALU_DEP_1) | instskip(NEXT) | instid1(VALU_DEP_1)
	v_lshrrev_b32_e32 v22, v16, v19
	v_lshlrev_b32_e32 v16, v16, v22
	s_delay_alu instid0(VALU_DEP_1) | instskip(SKIP_4) | instid1(VALU_DEP_2)
	v_cmp_ne_u32_e32 vcc_lo, v16, v19
	v_lshl_or_b32 v19, v14, 12, v8
	s_wait_alu 0xfffd
	v_cndmask_b32_e64 v16, 0, 1, vcc_lo
	v_cmp_gt_i32_e32 vcc_lo, 1, v14
	v_or_b32_e32 v16, v22, v16
	v_add_nc_u32_e32 v22, 0xfffffc10, v27
	s_wait_alu 0xfffd
	s_delay_alu instid0(VALU_DEP_2) | instskip(SKIP_1) | instid1(VALU_DEP_3)
	v_cndmask_b32_e32 v16, v19, v16, vcc_lo
	v_cndmask_b32_e64 v19, 0, 1, s1
	v_lshl_or_b32 v23, v22, 12, v26
	v_cmp_gt_i32_e32 vcc_lo, 1, v22
	s_delay_alu instid0(VALU_DEP_3) | instskip(SKIP_1) | instid1(VALU_DEP_1)
	v_or_b32_e32 v19, v28, v19
	s_wait_alu 0xfffd
	v_cndmask_b32_e32 v19, v23, v19, vcc_lo
	v_and_b32_e32 v23, 7, v16
	s_delay_alu instid0(VALU_DEP_2) | instskip(NEXT) | instid1(VALU_DEP_2)
	v_and_b32_e32 v8, 7, v19
	v_cmp_lt_i32_e32 vcc_lo, 5, v23
	v_cmp_eq_u32_e64 s1, 3, v23
	s_delay_alu instid0(VALU_DEP_3) | instskip(SKIP_2) | instid1(VALU_DEP_4)
	v_cmp_lt_i32_e64 s3, 5, v8
	v_cmp_eq_u32_e64 s4, 3, v8
	v_lshrrev_b32_e32 v8, 2, v16
	s_or_b32 vcc_lo, s1, vcc_lo
	v_cndmask_b32_e64 v16, 0, 1, s2
	s_delay_alu instid0(VALU_DEP_3)
	s_or_b32 s1, s4, s3
	s_wait_alu 0xfffe
	v_add_co_ci_u32_e32 v8, vcc_lo, 0, v8, vcc_lo
	v_cmp_gt_i32_e32 vcc_lo, 31, v14
	v_lshl_or_b32 v16, v16, 9, 0x7c00
	s_wait_alu 0xfffd
	s_delay_alu instid0(VALU_DEP_3) | instskip(SKIP_3) | instid1(VALU_DEP_3)
	v_cndmask_b32_e32 v8, 0x7c00, v8, vcc_lo
	v_cmp_eq_u32_e32 vcc_lo, 0x40f, v14
	v_lshrrev_b32_e32 v14, 16, v17
	s_wait_alu 0xfffd
	v_cndmask_b32_e32 v8, v8, v16, vcc_lo
	v_lshrrev_b32_e32 v16, 2, v19
	v_cmp_ne_u32_e32 vcc_lo, 0, v26
	scratch_load_b32 v19, off, off offset:240 th:TH_LOAD_LU ; 4-byte Folded Reload
	v_and_or_b32 v8, 0x8000, v14, v8
	v_add_co_ci_u32_e64 v16, s1, 0, v16, s1
	v_cmp_gt_i32_e64 s1, 31, v22
	s_wait_alu 0xfffd
	v_cndmask_b32_e64 v17, 0, 1, vcc_lo
	v_cmp_eq_u32_e32 vcc_lo, 0x40f, v22
	v_and_b32_e32 v8, 0xffff, v8
	s_wait_alu 0xf1ff
	v_cndmask_b32_e64 v16, 0x7c00, v16, s1
	v_lshl_or_b32 v17, v17, 9, 0x7c00
	s_wait_alu 0xfffd
	s_delay_alu instid0(VALU_DEP_1) | instskip(SKIP_1) | instid1(VALU_DEP_1)
	v_cndmask_b32_e32 v16, v16, v17, vcc_lo
	v_lshrrev_b32_e32 v17, 16, v21
	v_and_or_b32 v14, 0x8000, v17, v16
	s_delay_alu instid0(VALU_DEP_1)
	v_lshl_or_b32 v8, v14, 16, v8
	global_store_b32 v[10:11], v8, off
	v_cvt_f32_f16_e32 v8, v15
	v_add_co_u32 v10, vcc_lo, v10, s14
	s_wait_alu 0xfffd
	v_add_co_ci_u32_e32 v11, vcc_lo, s15, v11, vcc_lo
	s_delay_alu instid0(VALU_DEP_3) | instskip(NEXT) | instid1(VALU_DEP_1)
	v_cvt_f64_f32_e32 v[14:15], v8
	v_mul_f64_e32 v[15:16], s[10:11], v[14:15]
	s_delay_alu instid0(VALU_DEP_1) | instskip(SKIP_2) | instid1(VALU_DEP_3)
	v_and_or_b32 v8, 0x1ff, v16, v15
	v_lshrrev_b32_e32 v14, 8, v16
	v_bfe_u32 v23, v16, 20, 11
	v_cmp_ne_u32_e32 vcc_lo, 0, v8
	s_wait_alu 0xfffd
	v_cndmask_b32_e64 v8, 0, 1, vcc_lo
	s_delay_alu instid0(VALU_DEP_1) | instskip(SKIP_1) | instid1(VALU_DEP_2)
	v_and_or_b32 v17, 0xffe, v14, v8
	v_sub_nc_u32_e32 v8, 0x3f1, v23
	v_or_b32_e32 v14, 0x1000, v17
	s_delay_alu instid0(VALU_DEP_2) | instskip(NEXT) | instid1(VALU_DEP_1)
	v_med3_i32 v8, v8, 0, 13
	v_lshrrev_b32_e32 v24, v8, v14
	s_delay_alu instid0(VALU_DEP_1) | instskip(NEXT) | instid1(VALU_DEP_1)
	v_lshlrev_b32_e32 v8, v8, v24
	v_cmp_ne_u32_e32 vcc_lo, v8, v14
	scratch_load_b32 v14, off, off offset:244 th:TH_LOAD_LU ; 4-byte Folded Reload
	v_lshrrev_b32_e32 v8, 16, v7
	s_wait_loadcnt 0x0
	s_delay_alu instid0(VALU_DEP_1) | instskip(SKIP_1) | instid1(VALU_DEP_2)
	v_mul_f16_e32 v15, v14, v8
	v_mul_f16_e32 v14, v14, v7
	v_fmac_f16_e32 v15, v19, v7
	v_mul_f16_e32 v7, v32, v18
	s_delay_alu instid0(VALU_DEP_3) | instskip(SKIP_4) | instid1(VALU_DEP_1)
	v_fma_f16 v14, v19, v8, -v14
	scratch_load_b32 v32, off, off offset:204 th:TH_LOAD_LU ; 4-byte Folded Reload
	v_fmac_f16_e32 v7, v31, v4
	scratch_load_b32 v31, off, off offset:236 th:TH_LOAD_LU ; 4-byte Folded Reload
	v_cvt_f32_f16_e32 v4, v7
	v_cvt_f64_f32_e32 v[7:8], v4
	s_delay_alu instid0(VALU_DEP_1) | instskip(NEXT) | instid1(VALU_DEP_1)
	v_mul_f64_e32 v[7:8], s[10:11], v[7:8]
	v_and_or_b32 v4, 0x1ff, v8, v7
	v_lshrrev_b32_e32 v7, 8, v8
	s_delay_alu instid0(VALU_DEP_2) | instskip(SKIP_1) | instid1(VALU_DEP_1)
	v_cmp_ne_u32_e64 s1, 0, v4
	s_wait_alu 0xf1ff
	v_cndmask_b32_e64 v4, 0, 1, s1
	s_delay_alu instid0(VALU_DEP_1) | instskip(SKIP_1) | instid1(VALU_DEP_2)
	v_and_or_b32 v4, 0xffe, v7, v4
	v_bfe_u32 v7, v8, 20, 11
	v_or_b32_e32 v19, 0x1000, v4
	s_delay_alu instid0(VALU_DEP_2) | instskip(SKIP_2) | instid1(VALU_DEP_3)
	v_sub_nc_u32_e32 v18, 0x3f1, v7
	v_add_nc_u32_e32 v7, 0xfffffc10, v7
	v_cmp_ne_u32_e64 s2, 0, v4
	v_med3_i32 v18, v18, 0, 13
	s_delay_alu instid0(VALU_DEP_1) | instskip(NEXT) | instid1(VALU_DEP_1)
	v_lshrrev_b32_e32 v21, v18, v19
	v_lshlrev_b32_e32 v18, v18, v21
	s_delay_alu instid0(VALU_DEP_1) | instskip(SKIP_2) | instid1(VALU_DEP_2)
	v_cmp_ne_u32_e64 s1, v18, v19
	v_lshl_or_b32 v19, v7, 12, v4
	s_wait_alu 0xf1ff
	v_cndmask_b32_e64 v18, 0, 1, s1
	v_cmp_gt_i32_e64 s1, 1, v7
	s_delay_alu instid0(VALU_DEP_2) | instskip(SKIP_1) | instid1(VALU_DEP_1)
	v_or_b32_e32 v18, v21, v18
	s_wait_alu 0xf1ff
	v_cndmask_b32_e64 v18, v19, v18, s1
	v_cndmask_b32_e64 v19, 0, 1, s0
	v_cmp_gt_i32_e64 s0, 1, v12
	s_delay_alu instid0(VALU_DEP_2) | instskip(SKIP_2) | instid1(VALU_DEP_1)
	v_or_b32_e32 v19, v20, v19
	v_lshl_or_b32 v20, v12, 12, v6
	s_wait_alu 0xf1ff
	v_cndmask_b32_e64 v19, v20, v19, s0
	v_and_b32_e32 v20, 7, v18
	s_delay_alu instid0(VALU_DEP_2) | instskip(NEXT) | instid1(VALU_DEP_2)
	v_and_b32_e32 v4, 7, v19
	v_cmp_lt_i32_e64 s0, 5, v20
	v_cmp_eq_u32_e64 s1, 3, v20
	s_delay_alu instid0(VALU_DEP_3) | instskip(SKIP_2) | instid1(VALU_DEP_4)
	v_cmp_lt_i32_e64 s3, 5, v4
	v_cmp_eq_u32_e64 s4, 3, v4
	v_lshrrev_b32_e32 v4, 2, v18
	s_or_b32 s0, s1, s0
	v_cndmask_b32_e64 v18, 0, 1, s2
	s_delay_alu instid0(VALU_DEP_3)
	s_or_b32 s1, s4, s3
	s_wait_alu 0xfffe
	v_add_co_ci_u32_e64 v4, s0, 0, v4, s0
	v_cmp_gt_i32_e64 s0, 31, v7
	v_lshl_or_b32 v18, v18, 9, 0x7c00
	s_wait_alu 0xf1ff
	s_delay_alu instid0(VALU_DEP_2) | instskip(SKIP_3) | instid1(VALU_DEP_2)
	v_cndmask_b32_e64 v4, 0x7c00, v4, s0
	v_cmp_eq_u32_e64 s0, 0x40f, v7
	v_lshrrev_b32_e32 v7, 2, v19
	s_wait_alu 0xf1ff
	v_cndmask_b32_e64 v4, v4, v18, s0
	v_cmp_ne_u32_e64 s0, 0, v6
	s_delay_alu instid0(VALU_DEP_3)
	v_add_co_ci_u32_e64 v7, s1, 0, v7, s1
	v_lshrrev_b32_e32 v6, 16, v8
	v_cmp_gt_i32_e64 s1, 31, v12
	s_wait_alu 0xf1ff
	v_cndmask_b32_e64 v8, 0, 1, s0
	v_cmp_eq_u32_e64 s0, 0x40f, v12
	v_and_or_b32 v4, 0x8000, v6, v4
	v_cndmask_b32_e64 v7, 0x7c00, v7, s1
	s_delay_alu instid0(VALU_DEP_4) | instskip(NEXT) | instid1(VALU_DEP_3)
	v_lshl_or_b32 v8, v8, 9, 0x7c00
	v_and_b32_e32 v4, 0xffff, v4
	s_wait_alu 0xf1ff
	s_delay_alu instid0(VALU_DEP_2) | instskip(SKIP_4) | instid1(VALU_DEP_3)
	v_cndmask_b32_e64 v7, v7, v8, s0
	v_lshrrev_b32_e32 v8, 16, v13
	v_add_co_u32 v19, s0, v10, s14
	s_wait_alu 0xf1ff
	v_add_co_ci_u32_e64 v20, s0, s15, v11, s0
	v_and_or_b32 v6, 0x8000, v8, v7
	s_delay_alu instid0(VALU_DEP_1)
	v_lshl_or_b32 v4, v6, 16, v4
	ds_load_2addr_b32 v[6:7], v223 offset0:190 offset1:239
	global_store_b32 v[10:11], v4, off
	s_wait_dscnt 0x0
	v_lshrrev_b32_e32 v25, 16, v6
	s_wait_loadcnt 0x0
	v_mul_f16_e32 v4, v31, v6
	s_delay_alu instid0(VALU_DEP_1) | instskip(NEXT) | instid1(VALU_DEP_1)
	v_fma_f16 v4, v30, v25, -v4
	v_cvt_f32_f16_e32 v4, v4
	s_delay_alu instid0(VALU_DEP_1) | instskip(NEXT) | instid1(VALU_DEP_1)
	v_cvt_f64_f32_e32 v[10:11], v4
	v_mul_f64_e32 v[21:22], s[10:11], v[10:11]
	s_delay_alu instid0(VALU_DEP_1) | instskip(SKIP_2) | instid1(VALU_DEP_3)
	v_and_or_b32 v4, 0x1ff, v22, v21
	v_lshrrev_b32_e32 v8, 8, v22
	v_bfe_u32 v27, v22, 20, 11
	v_cmp_ne_u32_e64 s0, 0, v4
	s_wait_alu 0xf1ff
	s_delay_alu instid0(VALU_DEP_1) | instskip(NEXT) | instid1(VALU_DEP_1)
	v_cndmask_b32_e64 v4, 0, 1, s0
	v_and_or_b32 v26, 0xffe, v8, v4
	v_sub_nc_u32_e32 v4, 0x3f1, v27
	s_delay_alu instid0(VALU_DEP_2) | instskip(NEXT) | instid1(VALU_DEP_2)
	v_or_b32_e32 v8, 0x1000, v26
	v_med3_i32 v4, v4, 0, 13
	s_delay_alu instid0(VALU_DEP_1) | instskip(NEXT) | instid1(VALU_DEP_1)
	v_lshrrev_b32_e32 v28, v4, v8
	v_lshlrev_b32_e32 v4, v4, v28
	s_delay_alu instid0(VALU_DEP_1) | instskip(SKIP_1) | instid1(VALU_DEP_1)
	v_cmp_ne_u32_e64 s1, v4, v8
	v_cvt_f32_f16_e32 v4, v14
	v_cvt_f64_f32_e32 v[10:11], v4
	s_delay_alu instid0(VALU_DEP_1) | instskip(NEXT) | instid1(VALU_DEP_1)
	v_mul_f64_e32 v[11:12], s[10:11], v[10:11]
	v_and_or_b32 v4, 0x1ff, v12, v11
	v_lshrrev_b32_e32 v8, 8, v12
	v_bfe_u32 v13, v12, 20, 11
	scratch_load_b32 v11, off, off offset:224 th:TH_LOAD_LU ; 4-byte Folded Reload
	v_lshrrev_b32_e32 v12, 16, v12
	v_cmp_ne_u32_e64 s0, 0, v4
	s_wait_alu 0xf1ff
	s_delay_alu instid0(VALU_DEP_1) | instskip(NEXT) | instid1(VALU_DEP_1)
	v_cndmask_b32_e64 v4, 0, 1, s0
	v_and_or_b32 v4, 0xffe, v8, v4
	v_sub_nc_u32_e32 v8, 0x3f1, v13
	s_delay_alu instid0(VALU_DEP_2) | instskip(NEXT) | instid1(VALU_DEP_2)
	v_or_b32_e32 v10, 0x1000, v4
	v_med3_i32 v8, v8, 0, 13
	s_delay_alu instid0(VALU_DEP_1) | instskip(NEXT) | instid1(VALU_DEP_1)
	v_lshrrev_b32_e32 v18, v8, v10
	v_lshlrev_b32_e32 v8, v8, v18
	s_delay_alu instid0(VALU_DEP_1) | instskip(SKIP_3) | instid1(VALU_DEP_1)
	v_cmp_ne_u32_e64 s0, v8, v10
	scratch_load_b32 v10, off, off offset:228 th:TH_LOAD_LU ; 4-byte Folded Reload
	v_lshrrev_b32_e32 v8, 16, v9
	s_wait_loadcnt 0x0
	v_mul_f16_e32 v14, v10, v8
	v_mul_f16_e32 v10, v10, v9
	s_delay_alu instid0(VALU_DEP_2) | instskip(NEXT) | instid1(VALU_DEP_2)
	v_fmac_f16_e32 v14, v11, v9
	v_fma_f16 v29, v11, v8, -v10
	v_cvt_f64_f32_e32 v[8:9], v2
	s_delay_alu instid0(VALU_DEP_1) | instskip(NEXT) | instid1(VALU_DEP_1)
	v_mul_f64_e32 v[8:9], s[10:11], v[8:9]
	v_and_or_b32 v2, 0x1ff, v9, v8
	v_lshrrev_b32_e32 v8, 8, v9
	s_delay_alu instid0(VALU_DEP_2) | instskip(SKIP_1) | instid1(VALU_DEP_1)
	v_cmp_ne_u32_e64 s2, 0, v2
	s_wait_alu 0xf1ff
	v_cndmask_b32_e64 v2, 0, 1, s2
	s_delay_alu instid0(VALU_DEP_1) | instskip(SKIP_2) | instid1(VALU_DEP_3)
	v_and_or_b32 v2, 0xffe, v8, v2
	v_bfe_u32 v8, v9, 20, 11
	v_lshrrev_b32_e32 v9, 16, v9
	v_or_b32_e32 v11, 0x1000, v2
	s_delay_alu instid0(VALU_DEP_3) | instskip(SKIP_1) | instid1(VALU_DEP_2)
	v_sub_nc_u32_e32 v10, 0x3f1, v8
	v_add_nc_u32_e32 v8, 0xfffffc10, v8
	v_med3_i32 v10, v10, 0, 13
	s_delay_alu instid0(VALU_DEP_1) | instskip(NEXT) | instid1(VALU_DEP_1)
	v_lshrrev_b32_e32 v21, v10, v11
	v_lshlrev_b32_e32 v10, v10, v21
	s_delay_alu instid0(VALU_DEP_1) | instskip(SKIP_2) | instid1(VALU_DEP_2)
	v_cmp_ne_u32_e64 s2, v10, v11
	v_lshl_or_b32 v11, v8, 12, v2
	s_wait_alu 0xf1ff
	v_cndmask_b32_e64 v10, 0, 1, s2
	v_cmp_gt_i32_e64 s2, 1, v8
	s_delay_alu instid0(VALU_DEP_2) | instskip(SKIP_1) | instid1(VALU_DEP_1)
	v_or_b32_e32 v10, v21, v10
	s_wait_alu 0xf1ff
	v_cndmask_b32_e64 v10, v11, v10, s2
	s_delay_alu instid0(VALU_DEP_1) | instskip(SKIP_1) | instid1(VALU_DEP_2)
	v_and_b32_e32 v11, 7, v10
	v_lshrrev_b32_e32 v10, 2, v10
	v_cmp_lt_i32_e64 s2, 5, v11
	v_cmp_eq_u32_e64 s3, 3, v11
	s_wait_alu 0xfffd
	v_cndmask_b32_e64 v11, 0, 1, vcc_lo
	v_cmp_ne_u32_e32 vcc_lo, 0, v2
	v_add_nc_u32_e32 v2, 0xfffffc10, v23
	s_or_b32 s2, s3, s2
	s_delay_alu instid0(VALU_DEP_3)
	v_or_b32_e32 v11, v24, v11
	s_wait_alu 0xfffe
	v_add_co_ci_u32_e64 v10, s2, 0, v10, s2
	v_lshl_or_b32 v21, v2, 12, v17
	v_cmp_gt_i32_e64 s4, 1, v2
	v_cmp_gt_i32_e64 s2, 31, v8
	v_cmp_ne_u32_e64 s3, 0, v17
	s_wait_alu 0xf1ff
	s_delay_alu instid0(VALU_DEP_3) | instskip(SKIP_4) | instid1(VALU_DEP_3)
	v_cndmask_b32_e64 v11, v21, v11, s4
	s_wait_alu 0xfffd
	v_cndmask_b32_e64 v21, 0, 1, vcc_lo
	v_cndmask_b32_e64 v10, 0x7c00, v10, s2
	v_cmp_eq_u32_e32 vcc_lo, 0x40f, v8
	v_lshl_or_b32 v21, v21, 9, 0x7c00
	s_wait_alu 0xfffd
	s_delay_alu instid0(VALU_DEP_1) | instskip(SKIP_1) | instid1(VALU_DEP_2)
	v_cndmask_b32_e32 v8, v10, v21, vcc_lo
	v_and_b32_e32 v10, 7, v11
	v_and_or_b32 v8, 0x8000, v9, v8
	s_delay_alu instid0(VALU_DEP_2) | instskip(SKIP_4) | instid1(VALU_DEP_4)
	v_cmp_lt_i32_e32 vcc_lo, 5, v10
	v_cmp_eq_u32_e64 s2, 3, v10
	v_lshrrev_b32_e32 v10, 2, v11
	v_cndmask_b32_e64 v11, 0, 1, s3
	v_and_b32_e32 v8, 0xffff, v8
	s_or_b32 vcc_lo, s2, vcc_lo
	s_wait_alu 0xfffe
	v_add_co_ci_u32_e32 v10, vcc_lo, 0, v10, vcc_lo
	v_cmp_gt_i32_e32 vcc_lo, 31, v2
	v_lshl_or_b32 v11, v11, 9, 0x7c00
	s_wait_alu 0xfffd
	s_delay_alu instid0(VALU_DEP_3) | instskip(SKIP_2) | instid1(VALU_DEP_2)
	v_cndmask_b32_e32 v10, 0x7c00, v10, vcc_lo
	v_cmp_eq_u32_e32 vcc_lo, 0x40f, v2
	s_wait_alu 0xfffd
	v_cndmask_b32_e32 v2, v10, v11, vcc_lo
	v_lshrrev_b32_e32 v10, 16, v16
	v_add_co_u32 v23, vcc_lo, v19, s14
	s_wait_alu 0xfffd
	v_add_co_ci_u32_e32 v24, vcc_lo, s15, v20, vcc_lo
	s_delay_alu instid0(VALU_DEP_3) | instskip(NEXT) | instid1(VALU_DEP_1)
	v_and_or_b32 v2, 0x8000, v10, v2
	v_lshl_or_b32 v2, v2, 16, v8
	ds_load_2addr_b32 v[8:9], v187 offset0:108 offset1:157
	global_store_b32 v[19:20], v2, off
	s_wait_dscnt 0x0
	v_lshrrev_b32_e32 v19, 16, v8
	v_mul_f16_e32 v2, v34, v8
	s_delay_alu instid0(VALU_DEP_1)
	v_fma_f16 v2, v33, v19, -v2
	v_mul_f16_e32 v19, v34, v19
	scratch_load_b32 v34, off, off offset:136 th:TH_LOAD_LU ; 4-byte Folded Reload
	v_cvt_f32_f16_e32 v2, v2
	v_fmac_f16_e32 v19, v33, v8
	scratch_load_b32 v33, off, off offset:188 th:TH_LOAD_LU ; 4-byte Folded Reload
	v_cvt_f64_f32_e32 v[10:11], v2
	v_cvt_f32_f16_e32 v8, v19
	s_delay_alu instid0(VALU_DEP_2) | instskip(NEXT) | instid1(VALU_DEP_1)
	v_mul_f64_e32 v[10:11], s[10:11], v[10:11]
	v_and_or_b32 v2, 0x1ff, v11, v10
	v_lshrrev_b32_e32 v10, 8, v11
	v_bfe_u32 v16, v11, 20, 11
	s_delay_alu instid0(VALU_DEP_3) | instskip(SKIP_2) | instid1(VALU_DEP_1)
	v_cmp_ne_u32_e32 vcc_lo, 0, v2
	s_wait_alu 0xfffd
	v_cndmask_b32_e64 v2, 0, 1, vcc_lo
	v_and_or_b32 v10, 0xffe, v10, v2
	v_sub_nc_u32_e32 v2, 0x3f1, v16
	v_add_nc_u32_e32 v16, 0xfffffc10, v16
	s_delay_alu instid0(VALU_DEP_3) | instskip(NEXT) | instid1(VALU_DEP_3)
	v_or_b32_e32 v20, 0x1000, v10
	v_med3_i32 v2, v2, 0, 13
	s_delay_alu instid0(VALU_DEP_1) | instskip(NEXT) | instid1(VALU_DEP_1)
	v_lshrrev_b32_e32 v17, v2, v20
	v_lshlrev_b32_e32 v2, v2, v17
	s_delay_alu instid0(VALU_DEP_1) | instskip(SKIP_3) | instid1(VALU_DEP_1)
	v_cmp_ne_u32_e32 vcc_lo, v2, v20
	v_mul_f16_e32 v2, v31, v25
	scratch_load_b32 v31, off, off offset:200 th:TH_LOAD_LU ; 4-byte Folded Reload
	v_fmac_f16_e32 v2, v30, v6
	v_cvt_f32_f16_e32 v2, v2
	s_delay_alu instid0(VALU_DEP_1) | instskip(NEXT) | instid1(VALU_DEP_1)
	v_cvt_f64_f32_e32 v[20:21], v2
	v_mul_f64_e32 v[20:21], s[10:11], v[20:21]
	s_delay_alu instid0(VALU_DEP_1) | instskip(SKIP_1) | instid1(VALU_DEP_2)
	v_and_or_b32 v2, 0x1ff, v21, v20
	v_lshrrev_b32_e32 v6, 8, v21
	v_cmp_ne_u32_e64 s2, 0, v2
	s_wait_alu 0xf1ff
	s_delay_alu instid0(VALU_DEP_1) | instskip(NEXT) | instid1(VALU_DEP_1)
	v_cndmask_b32_e64 v2, 0, 1, s2
	v_and_or_b32 v2, 0xffe, v6, v2
	v_bfe_u32 v6, v21, 20, 11
	s_delay_alu instid0(VALU_DEP_2) | instskip(NEXT) | instid1(VALU_DEP_2)
	v_or_b32_e32 v25, 0x1000, v2
	v_sub_nc_u32_e32 v20, 0x3f1, v6
	v_add_nc_u32_e32 v6, 0xfffffc10, v6
	s_delay_alu instid0(VALU_DEP_2) | instskip(NEXT) | instid1(VALU_DEP_1)
	v_med3_i32 v20, v20, 0, 13
	v_lshrrev_b32_e32 v30, v20, v25
	s_delay_alu instid0(VALU_DEP_1) | instskip(NEXT) | instid1(VALU_DEP_1)
	v_lshlrev_b32_e32 v20, v20, v30
	v_cmp_ne_u32_e64 s2, v20, v25
	v_lshl_or_b32 v25, v6, 12, v2
	s_wait_alu 0xf1ff
	s_delay_alu instid0(VALU_DEP_2) | instskip(SKIP_1) | instid1(VALU_DEP_2)
	v_cndmask_b32_e64 v20, 0, 1, s2
	v_cmp_gt_i32_e64 s2, 1, v6
	v_or_b32_e32 v20, v30, v20
	s_wait_alu 0xf1ff
	s_delay_alu instid0(VALU_DEP_1) | instskip(NEXT) | instid1(VALU_DEP_1)
	v_cndmask_b32_e64 v20, v25, v20, s2
	v_and_b32_e32 v25, 7, v20
	v_lshrrev_b32_e32 v20, 2, v20
	s_delay_alu instid0(VALU_DEP_2) | instskip(SKIP_4) | instid1(VALU_DEP_4)
	v_cmp_lt_i32_e64 s2, 5, v25
	v_cmp_eq_u32_e64 s3, 3, v25
	v_cndmask_b32_e64 v25, 0, 1, s1
	v_cmp_ne_u32_e64 s1, 0, v2
	v_add_nc_u32_e32 v2, 0xfffffc10, v27
	s_or_b32 s2, s3, s2
	s_delay_alu instid0(VALU_DEP_3)
	v_or_b32_e32 v25, v28, v25
	s_wait_alu 0xfffe
	v_add_co_ci_u32_e64 v20, s2, 0, v20, s2
	v_lshl_or_b32 v27, v2, 12, v26
	v_cmp_gt_i32_e64 s4, 1, v2
	v_cmp_gt_i32_e64 s2, 31, v6
	v_cmp_ne_u32_e64 s3, 0, v26
	s_wait_alu 0xf1ff
	s_delay_alu instid0(VALU_DEP_3) | instskip(SKIP_3) | instid1(VALU_DEP_3)
	v_cndmask_b32_e64 v25, v27, v25, s4
	v_cndmask_b32_e64 v27, 0, 1, s1
	;; [unrolled: 1-line block ×3, first 2 shown]
	v_cmp_eq_u32_e64 s1, 0x40f, v6
	v_lshl_or_b32 v27, v27, 9, 0x7c00
	s_wait_alu 0xf1ff
	s_delay_alu instid0(VALU_DEP_1) | instskip(SKIP_2) | instid1(VALU_DEP_2)
	v_cndmask_b32_e64 v6, v20, v27, s1
	v_lshrrev_b32_e32 v20, 16, v21
	v_and_b32_e32 v21, 7, v25
	v_and_or_b32 v6, 0x8000, v20, v6
	s_delay_alu instid0(VALU_DEP_2) | instskip(SKIP_4) | instid1(VALU_DEP_4)
	v_cmp_lt_i32_e64 s1, 5, v21
	v_cmp_eq_u32_e64 s2, 3, v21
	v_lshrrev_b32_e32 v21, 2, v25
	v_cndmask_b32_e64 v25, 0, 1, s3
	v_and_b32_e32 v6, 0xffff, v6
	s_or_b32 s1, s2, s1
	s_wait_alu 0xfffe
	v_add_co_ci_u32_e64 v21, s1, 0, v21, s1
	v_cmp_gt_i32_e64 s1, 31, v2
	v_lshl_or_b32 v25, v25, 9, 0x7c00
	s_wait_alu 0xf1ff
	s_delay_alu instid0(VALU_DEP_2) | instskip(SKIP_2) | instid1(VALU_DEP_1)
	v_cndmask_b32_e64 v21, 0x7c00, v21, s1
	v_cmp_eq_u32_e64 s1, 0x40f, v2
	s_wait_alu 0xf1ff
	v_cndmask_b32_e64 v2, v21, v25, s1
	v_lshrrev_b32_e32 v21, 16, v22
	v_add_co_u32 v20, s1, v23, s14
	s_delay_alu instid0(VALU_DEP_2) | instskip(SKIP_2) | instid1(VALU_DEP_2)
	v_and_or_b32 v2, 0x8000, v21, v2
	s_wait_alu 0xf1ff
	v_add_co_ci_u32_e64 v21, s1, s15, v24, s1
	v_lshl_or_b32 v2, v2, 16, v6
	global_store_b32 v[23:24], v2, off
	v_cvt_f32_f16_e32 v2, v15
	s_delay_alu instid0(VALU_DEP_1) | instskip(NEXT) | instid1(VALU_DEP_1)
	v_cvt_f64_f32_e32 v[22:23], v2
	v_mul_f64_e32 v[22:23], s[10:11], v[22:23]
	s_delay_alu instid0(VALU_DEP_1) | instskip(SKIP_1) | instid1(VALU_DEP_2)
	v_and_or_b32 v2, 0x1ff, v23, v22
	v_lshrrev_b32_e32 v6, 8, v23
	v_cmp_ne_u32_e64 s1, 0, v2
	s_wait_alu 0xf1ff
	s_delay_alu instid0(VALU_DEP_1) | instskip(NEXT) | instid1(VALU_DEP_1)
	v_cndmask_b32_e64 v2, 0, 1, s1
	v_and_or_b32 v2, 0xffe, v6, v2
	v_bfe_u32 v6, v23, 20, 11
	s_delay_alu instid0(VALU_DEP_2) | instskip(NEXT) | instid1(VALU_DEP_2)
	v_or_b32_e32 v22, 0x1000, v2
	v_sub_nc_u32_e32 v15, 0x3f1, v6
	v_add_nc_u32_e32 v6, 0xfffffc10, v6
	s_delay_alu instid0(VALU_DEP_2) | instskip(NEXT) | instid1(VALU_DEP_1)
	v_med3_i32 v15, v15, 0, 13
	v_lshrrev_b32_e32 v24, v15, v22
	s_delay_alu instid0(VALU_DEP_1) | instskip(NEXT) | instid1(VALU_DEP_1)
	v_lshlrev_b32_e32 v15, v15, v24
	v_cmp_ne_u32_e64 s1, v15, v22
	v_lshl_or_b32 v22, v6, 12, v2
	s_wait_alu 0xf1ff
	s_delay_alu instid0(VALU_DEP_2) | instskip(SKIP_1) | instid1(VALU_DEP_2)
	v_cndmask_b32_e64 v15, 0, 1, s1
	v_cmp_gt_i32_e64 s1, 1, v6
	v_or_b32_e32 v15, v24, v15
	s_wait_alu 0xf1ff
	s_delay_alu instid0(VALU_DEP_1) | instskip(NEXT) | instid1(VALU_DEP_1)
	v_cndmask_b32_e64 v15, v22, v15, s1
	v_and_b32_e32 v22, 7, v15
	v_lshrrev_b32_e32 v15, 2, v15
	s_delay_alu instid0(VALU_DEP_2) | instskip(SKIP_4) | instid1(VALU_DEP_4)
	v_cmp_lt_i32_e64 s1, 5, v22
	v_cmp_eq_u32_e64 s2, 3, v22
	v_cndmask_b32_e64 v22, 0, 1, s0
	v_cmp_ne_u32_e64 s0, 0, v2
	v_add_nc_u32_e32 v2, 0xfffffc10, v13
	s_or_b32 s1, s2, s1
	s_delay_alu instid0(VALU_DEP_3)
	v_or_b32_e32 v18, v18, v22
	s_wait_alu 0xfffe
	v_add_co_ci_u32_e64 v15, s1, 0, v15, s1
	v_lshl_or_b32 v13, v2, 12, v4
	v_cmp_gt_i32_e64 s3, 1, v2
	v_cmp_gt_i32_e64 s1, 31, v6
	v_cmp_ne_u32_e64 s2, 0, v4
	v_lshrrev_b32_e32 v4, 16, v23
	s_wait_alu 0xf1ff
	v_cndmask_b32_e64 v13, v13, v18, s3
	v_cndmask_b32_e64 v18, 0, 1, s0
	;; [unrolled: 1-line block ×3, first 2 shown]
	v_cmp_eq_u32_e64 s0, 0x40f, v6
	s_delay_alu instid0(VALU_DEP_3) | instskip(SKIP_1) | instid1(VALU_DEP_1)
	v_lshl_or_b32 v18, v18, 9, 0x7c00
	s_wait_alu 0xf1ff
	v_cndmask_b32_e64 v6, v15, v18, s0
	v_and_b32_e32 v15, 7, v13
	v_lshrrev_b32_e32 v13, 2, v13
	s_delay_alu instid0(VALU_DEP_3) | instskip(NEXT) | instid1(VALU_DEP_3)
	v_and_or_b32 v4, 0x8000, v4, v6
	v_cmp_lt_i32_e64 s0, 5, v15
	v_cmp_eq_u32_e64 s1, 3, v15
	v_cndmask_b32_e64 v15, 0, 1, s2
	scratch_load_b32 v6, off, off offset:212 th:TH_LOAD_LU ; 4-byte Folded Reload
	v_and_b32_e32 v4, 0xffff, v4
	s_or_b32 s0, s1, s0
	v_lshl_or_b32 v15, v15, 9, 0x7c00
	s_wait_alu 0xfffe
	v_add_co_ci_u32_e64 v13, s0, 0, v13, s0
	v_cmp_gt_i32_e64 s0, 31, v2
	s_wait_alu 0xf1ff
	s_delay_alu instid0(VALU_DEP_1) | instskip(SKIP_2) | instid1(VALU_DEP_1)
	v_cndmask_b32_e64 v13, 0x7c00, v13, s0
	v_cmp_eq_u32_e64 s0, 0x40f, v2
	s_wait_alu 0xf1ff
	v_cndmask_b32_e64 v2, v13, v15, s0
	v_add_co_u32 v22, s0, v20, s14
	s_wait_alu 0xf1ff
	v_add_co_ci_u32_e64 v23, s0, s15, v21, s0
	s_delay_alu instid0(VALU_DEP_3) | instskip(NEXT) | instid1(VALU_DEP_1)
	v_and_or_b32 v2, 0x8000, v12, v2
	v_lshl_or_b32 v2, v2, 16, v4
	global_store_b32 v[20:21], v2, off
	v_cvt_f32_f16_e32 v2, v29
	s_delay_alu instid0(VALU_DEP_1) | instskip(NEXT) | instid1(VALU_DEP_1)
	v_cvt_f64_f32_e32 v[12:13], v2
	v_mul_f64_e32 v[20:21], s[10:11], v[12:13]
	scratch_load_b32 v12, off, off offset:208 th:TH_LOAD_LU ; 4-byte Folded Reload
	v_and_or_b32 v2, 0x1ff, v21, v20
	v_lshrrev_b32_e32 v4, 8, v21
	v_bfe_u32 v27, v21, 20, 11
	s_delay_alu instid0(VALU_DEP_3) | instskip(SKIP_1) | instid1(VALU_DEP_1)
	v_cmp_ne_u32_e64 s0, 0, v2
	s_wait_alu 0xf1ff
	v_cndmask_b32_e64 v2, 0, 1, s0
	s_delay_alu instid0(VALU_DEP_1) | instskip(SKIP_1) | instid1(VALU_DEP_2)
	v_and_or_b32 v26, 0xffe, v4, v2
	v_sub_nc_u32_e32 v2, 0x3f1, v27
	v_or_b32_e32 v4, 0x1000, v26
	s_delay_alu instid0(VALU_DEP_2) | instskip(NEXT) | instid1(VALU_DEP_1)
	v_med3_i32 v2, v2, 0, 13
	v_lshrrev_b32_e32 v28, v2, v4
	s_delay_alu instid0(VALU_DEP_1) | instskip(NEXT) | instid1(VALU_DEP_1)
	v_lshlrev_b32_e32 v2, v2, v28
	v_cmp_ne_u32_e64 s1, v2, v4
	v_lshrrev_b32_e32 v4, 16, v5
	s_wait_loadcnt 0x1
	s_delay_alu instid0(VALU_DEP_1) | instskip(SKIP_2) | instid1(VALU_DEP_2)
	v_mul_f16_e32 v2, v6, v4
	v_mul_f16_e32 v6, v6, v5
	s_wait_loadcnt 0x0
	v_fmac_f16_e32 v2, v12, v5
	s_delay_alu instid0(VALU_DEP_2)
	v_fma_f16 v18, v12, v4, -v6
	ds_load_2addr_b32 v[4:5], v217 offset0:106 offset1:155
	v_cvt_f32_f16_e32 v2, v2
	s_wait_dscnt 0x0
	v_lshrrev_b32_e32 v15, 16, v4
	v_mul_f16_e32 v6, v32, v4
	s_delay_alu instid0(VALU_DEP_1) | instskip(NEXT) | instid1(VALU_DEP_1)
	v_fma_f16 v6, v31, v15, -v6
	v_cvt_f32_f16_e32 v6, v6
	s_delay_alu instid0(VALU_DEP_1) | instskip(NEXT) | instid1(VALU_DEP_1)
	v_cvt_f64_f32_e32 v[12:13], v6
	v_mul_f64_e32 v[12:13], s[10:11], v[12:13]
	s_delay_alu instid0(VALU_DEP_1) | instskip(SKIP_1) | instid1(VALU_DEP_2)
	v_and_or_b32 v6, 0x1ff, v13, v12
	v_lshrrev_b32_e32 v12, 8, v13
	v_cmp_ne_u32_e64 s0, 0, v6
	s_wait_alu 0xf1ff
	s_delay_alu instid0(VALU_DEP_1) | instskip(NEXT) | instid1(VALU_DEP_1)
	v_cndmask_b32_e64 v6, 0, 1, s0
	v_and_or_b32 v6, 0xffe, v12, v6
	v_bfe_u32 v12, v13, 20, 11
	s_delay_alu instid0(VALU_DEP_2) | instskip(NEXT) | instid1(VALU_DEP_2)
	v_or_b32_e32 v25, 0x1000, v6
	v_sub_nc_u32_e32 v20, 0x3f1, v12
	v_add_nc_u32_e32 v12, 0xfffffc10, v12
	s_delay_alu instid0(VALU_DEP_2) | instskip(NEXT) | instid1(VALU_DEP_1)
	v_med3_i32 v24, v20, 0, 13
	v_lshrrev_b32_e32 v20, v24, v25
	s_delay_alu instid0(VALU_DEP_1) | instskip(NEXT) | instid1(VALU_DEP_1)
	v_lshlrev_b32_e32 v24, v24, v20
	v_cmp_ne_u32_e64 s0, v24, v25
	v_cvt_f64_f32_e32 v[24:25], v8
	s_delay_alu instid0(VALU_DEP_1) | instskip(NEXT) | instid1(VALU_DEP_1)
	v_mul_f64_e32 v[24:25], s[10:11], v[24:25]
	v_and_or_b32 v8, 0x1ff, v25, v24
	v_lshrrev_b32_e32 v19, 8, v25
	s_delay_alu instid0(VALU_DEP_2) | instskip(SKIP_1) | instid1(VALU_DEP_1)
	v_cmp_ne_u32_e64 s2, 0, v8
	s_wait_alu 0xf1ff
	v_cndmask_b32_e64 v8, 0, 1, s2
	s_delay_alu instid0(VALU_DEP_1) | instskip(SKIP_1) | instid1(VALU_DEP_2)
	v_and_or_b32 v8, 0xffe, v19, v8
	v_bfe_u32 v19, v25, 20, 11
	v_or_b32_e32 v29, 0x1000, v8
	s_delay_alu instid0(VALU_DEP_2) | instskip(SKIP_2) | instid1(VALU_DEP_3)
	v_sub_nc_u32_e32 v24, 0x3f1, v19
	v_add_nc_u32_e32 v19, 0xfffffc10, v19
	v_cmp_ne_u32_e64 s4, 0, v8
	v_med3_i32 v24, v24, 0, 13
	s_delay_alu instid0(VALU_DEP_1) | instskip(NEXT) | instid1(VALU_DEP_1)
	v_lshrrev_b32_e32 v30, v24, v29
	v_lshlrev_b32_e32 v24, v24, v30
	s_delay_alu instid0(VALU_DEP_1)
	v_cmp_ne_u32_e64 s2, v24, v29
	v_lshl_or_b32 v29, v19, 12, v8
	s_wait_alu 0xfffd
	v_cndmask_b32_e64 v8, 0, 1, vcc_lo
	v_cmp_gt_i32_e32 vcc_lo, 1, v16
	s_wait_alu 0xf1ff
	v_cndmask_b32_e64 v24, 0, 1, s2
	v_cmp_gt_i32_e64 s2, 1, v19
	v_or_b32_e32 v8, v17, v8
	v_lshl_or_b32 v17, v16, 12, v10
	s_delay_alu instid0(VALU_DEP_4)
	v_or_b32_e32 v24, v30, v24
	scratch_load_b32 v30, off, off offset:184 th:TH_LOAD_LU ; 4-byte Folded Reload
	s_wait_alu 0xfffd
	v_cndmask_b32_e32 v8, v17, v8, vcc_lo
	s_wait_alu 0xf1ff
	v_cndmask_b32_e64 v24, v29, v24, s2
	s_delay_alu instid0(VALU_DEP_1) | instskip(SKIP_2) | instid1(VALU_DEP_3)
	v_and_b32_e32 v29, 7, v24
	v_lshrrev_b32_e32 v17, 2, v24
	v_cndmask_b32_e64 v24, 0, 1, s4
	v_cmp_lt_i32_e64 s2, 5, v29
	v_cmp_eq_u32_e64 s3, 3, v29
	s_delay_alu instid0(VALU_DEP_3) | instskip(NEXT) | instid1(VALU_DEP_2)
	v_lshl_or_b32 v24, v24, 9, 0x7c00
	s_or_b32 vcc_lo, s3, s2
	v_cmp_ne_u32_e64 s3, 0, v10
	s_wait_alu 0xfffe
	v_add_co_ci_u32_e32 v17, vcc_lo, 0, v17, vcc_lo
	v_cmp_gt_i32_e32 vcc_lo, 31, v19
	s_wait_alu 0xf1ff
	v_cndmask_b32_e64 v10, 0, 1, s3
	s_wait_alu 0xfffd
	v_cndmask_b32_e32 v17, 0x7c00, v17, vcc_lo
	v_cmp_eq_u32_e32 vcc_lo, 0x40f, v19
	v_lshrrev_b32_e32 v19, 16, v25
	v_lshl_or_b32 v10, v10, 9, 0x7c00
	s_wait_alu 0xfffd
	v_cndmask_b32_e32 v17, v17, v24, vcc_lo
	v_and_b32_e32 v24, 7, v8
	v_lshrrev_b32_e32 v8, 2, v8
	s_delay_alu instid0(VALU_DEP_2) | instskip(SKIP_1) | instid1(VALU_DEP_1)
	v_cmp_lt_i32_e32 vcc_lo, 5, v24
	v_cmp_eq_u32_e64 s2, 3, v24
	s_or_b32 vcc_lo, s2, vcc_lo
	s_wait_alu 0xfffe
	v_add_co_ci_u32_e32 v8, vcc_lo, 0, v8, vcc_lo
	v_cmp_gt_i32_e32 vcc_lo, 31, v16
	s_wait_alu 0xfffd
	s_delay_alu instid0(VALU_DEP_2) | instskip(SKIP_2) | instid1(VALU_DEP_2)
	v_cndmask_b32_e32 v8, 0x7c00, v8, vcc_lo
	v_cmp_eq_u32_e32 vcc_lo, 0x40f, v16
	s_wait_alu 0xfffd
	v_cndmask_b32_e32 v8, v8, v10, vcc_lo
	v_lshrrev_b32_e32 v10, 16, v11
	v_and_or_b32 v11, 0x8000, v19, v17
	s_delay_alu instid0(VALU_DEP_2) | instskip(NEXT) | instid1(VALU_DEP_2)
	v_and_or_b32 v8, 0x8000, v10, v8
	v_and_b32_e32 v10, 0xffff, v11
	s_delay_alu instid0(VALU_DEP_1)
	v_lshl_or_b32 v8, v8, 16, v10
	v_add_co_u32 v10, vcc_lo, v22, s8
	s_wait_alu 0xfffd
	v_add_co_ci_u32_e32 v11, vcc_lo, s9, v23, vcc_lo
	global_store_b32 v[22:23], v8, off
	v_cvt_f32_f16_e32 v8, v14
	s_delay_alu instid0(VALU_DEP_1) | instskip(NEXT) | instid1(VALU_DEP_1)
	v_cvt_f64_f32_e32 v[16:17], v8
	v_mul_f64_e32 v[16:17], s[10:11], v[16:17]
	s_delay_alu instid0(VALU_DEP_1) | instskip(SKIP_1) | instid1(VALU_DEP_2)
	v_and_or_b32 v8, 0x1ff, v17, v16
	v_lshrrev_b32_e32 v14, 8, v17
	v_cmp_ne_u32_e32 vcc_lo, 0, v8
	s_wait_alu 0xfffd
	v_cndmask_b32_e64 v8, 0, 1, vcc_lo
	s_delay_alu instid0(VALU_DEP_1) | instskip(SKIP_1) | instid1(VALU_DEP_2)
	v_and_or_b32 v8, 0xffe, v14, v8
	v_bfe_u32 v14, v17, 20, 11
	v_or_b32_e32 v19, 0x1000, v8
	s_delay_alu instid0(VALU_DEP_2) | instskip(SKIP_2) | instid1(VALU_DEP_3)
	v_sub_nc_u32_e32 v16, 0x3f1, v14
	v_add_nc_u32_e32 v14, 0xfffffc10, v14
	v_cmp_ne_u32_e64 s2, 0, v8
	v_med3_i32 v16, v16, 0, 13
	s_delay_alu instid0(VALU_DEP_1) | instskip(NEXT) | instid1(VALU_DEP_1)
	v_lshrrev_b32_e32 v22, v16, v19
	v_lshlrev_b32_e32 v16, v16, v22
	s_delay_alu instid0(VALU_DEP_1) | instskip(SKIP_4) | instid1(VALU_DEP_2)
	v_cmp_ne_u32_e32 vcc_lo, v16, v19
	v_lshl_or_b32 v19, v14, 12, v8
	s_wait_alu 0xfffd
	v_cndmask_b32_e64 v16, 0, 1, vcc_lo
	v_cmp_gt_i32_e32 vcc_lo, 1, v14
	v_or_b32_e32 v16, v22, v16
	v_add_nc_u32_e32 v22, 0xfffffc10, v27
	s_wait_alu 0xfffd
	s_delay_alu instid0(VALU_DEP_2) | instskip(SKIP_1) | instid1(VALU_DEP_3)
	v_cndmask_b32_e32 v16, v19, v16, vcc_lo
	v_cndmask_b32_e64 v19, 0, 1, s1
	v_lshl_or_b32 v23, v22, 12, v26
	v_cmp_gt_i32_e32 vcc_lo, 1, v22
	s_delay_alu instid0(VALU_DEP_3) | instskip(SKIP_1) | instid1(VALU_DEP_1)
	v_or_b32_e32 v19, v28, v19
	s_wait_alu 0xfffd
	v_cndmask_b32_e32 v19, v23, v19, vcc_lo
	v_and_b32_e32 v23, 7, v16
	s_delay_alu instid0(VALU_DEP_2) | instskip(NEXT) | instid1(VALU_DEP_2)
	v_and_b32_e32 v8, 7, v19
	v_cmp_lt_i32_e32 vcc_lo, 5, v23
	v_cmp_eq_u32_e64 s1, 3, v23
	s_delay_alu instid0(VALU_DEP_3) | instskip(SKIP_2) | instid1(VALU_DEP_4)
	v_cmp_lt_i32_e64 s3, 5, v8
	v_cmp_eq_u32_e64 s4, 3, v8
	v_lshrrev_b32_e32 v8, 2, v16
	s_or_b32 vcc_lo, s1, vcc_lo
	v_cndmask_b32_e64 v16, 0, 1, s2
	s_delay_alu instid0(VALU_DEP_3)
	s_or_b32 s1, s4, s3
	s_wait_alu 0xfffe
	v_add_co_ci_u32_e32 v8, vcc_lo, 0, v8, vcc_lo
	v_cmp_gt_i32_e32 vcc_lo, 31, v14
	v_lshl_or_b32 v16, v16, 9, 0x7c00
	s_wait_alu 0xfffd
	s_delay_alu instid0(VALU_DEP_3) | instskip(SKIP_3) | instid1(VALU_DEP_3)
	v_cndmask_b32_e32 v8, 0x7c00, v8, vcc_lo
	v_cmp_eq_u32_e32 vcc_lo, 0x40f, v14
	v_lshrrev_b32_e32 v14, 16, v17
	s_wait_alu 0xfffd
	v_cndmask_b32_e32 v8, v8, v16, vcc_lo
	v_lshrrev_b32_e32 v16, 2, v19
	v_cmp_ne_u32_e32 vcc_lo, 0, v26
	s_delay_alu instid0(VALU_DEP_3) | instskip(NEXT) | instid1(VALU_DEP_3)
	v_and_or_b32 v8, 0x8000, v14, v8
	v_add_co_ci_u32_e64 v16, s1, 0, v16, s1
	v_cmp_gt_i32_e64 s1, 31, v22
	s_wait_alu 0xfffd
	v_cndmask_b32_e64 v17, 0, 1, vcc_lo
	v_cmp_eq_u32_e32 vcc_lo, 0x40f, v22
	v_and_b32_e32 v8, 0xffff, v8
	s_wait_alu 0xf1ff
	v_cndmask_b32_e64 v16, 0x7c00, v16, s1
	v_lshl_or_b32 v17, v17, 9, 0x7c00
	s_wait_alu 0xfffd
	s_delay_alu instid0(VALU_DEP_1) | instskip(SKIP_1) | instid1(VALU_DEP_1)
	v_cndmask_b32_e32 v16, v16, v17, vcc_lo
	v_lshrrev_b32_e32 v17, 16, v21
	v_and_or_b32 v14, 0x8000, v17, v16
	s_delay_alu instid0(VALU_DEP_1)
	v_lshl_or_b32 v8, v14, 16, v8
	global_store_b32 v[10:11], v8, off
	v_cvt_f32_f16_e32 v8, v18
	scratch_load_b32 v18, off, off offset:192 th:TH_LOAD_LU ; 4-byte Folded Reload
	v_add_co_u32 v10, vcc_lo, v10, s14
	s_wait_alu 0xfffd
	v_add_co_ci_u32_e32 v11, vcc_lo, s15, v11, vcc_lo
	v_cvt_f64_f32_e32 v[16:17], v8
	s_delay_alu instid0(VALU_DEP_1) | instskip(NEXT) | instid1(VALU_DEP_1)
	v_mul_f64_e32 v[16:17], s[10:11], v[16:17]
	v_and_or_b32 v8, 0x1ff, v17, v16
	scratch_load_b32 v16, off, off offset:196 th:TH_LOAD_LU ; 4-byte Folded Reload
	v_lshrrev_b32_e32 v14, 8, v17
	v_bfe_u32 v22, v17, 20, 11
	v_cmp_ne_u32_e32 vcc_lo, 0, v8
	s_wait_alu 0xfffd
	v_cndmask_b32_e64 v8, 0, 1, vcc_lo
	s_delay_alu instid0(VALU_DEP_1) | instskip(SKIP_1) | instid1(VALU_DEP_2)
	v_and_or_b32 v21, 0xffe, v14, v8
	v_sub_nc_u32_e32 v8, 0x3f1, v22
	v_or_b32_e32 v14, 0x1000, v21
	s_delay_alu instid0(VALU_DEP_2) | instskip(NEXT) | instid1(VALU_DEP_1)
	v_med3_i32 v8, v8, 0, 13
	v_lshrrev_b32_e32 v23, v8, v14
	s_delay_alu instid0(VALU_DEP_1) | instskip(NEXT) | instid1(VALU_DEP_1)
	v_lshlrev_b32_e32 v8, v8, v23
	v_cmp_ne_u32_e64 s1, v8, v14
	v_lshrrev_b32_e32 v8, 16, v7
	s_wait_loadcnt 0x0
	s_delay_alu instid0(VALU_DEP_1) | instskip(SKIP_1) | instid1(VALU_DEP_2)
	v_mul_f16_e32 v14, v16, v8
	v_mul_f16_e32 v16, v16, v7
	v_fmac_f16_e32 v14, v18, v7
	v_mul_f16_e32 v7, v32, v15
	s_delay_alu instid0(VALU_DEP_3)
	v_fma_f16 v24, v18, v8, -v16
	scratch_load_b32 v32, off, off offset:172 th:TH_LOAD_LU ; 4-byte Folded Reload
	v_cvt_f32_f16_e32 v14, v14
	v_fmac_f16_e32 v7, v31, v4
	scratch_load_b32 v31, off, off offset:168 th:TH_LOAD_LU ; 4-byte Folded Reload
	v_cvt_f32_f16_e32 v4, v7
	s_delay_alu instid0(VALU_DEP_1) | instskip(NEXT) | instid1(VALU_DEP_1)
	v_cvt_f64_f32_e32 v[7:8], v4
	v_mul_f64_e32 v[7:8], s[10:11], v[7:8]
	s_delay_alu instid0(VALU_DEP_1) | instskip(SKIP_1) | instid1(VALU_DEP_2)
	v_and_or_b32 v4, 0x1ff, v8, v7
	v_lshrrev_b32_e32 v7, 8, v8
	v_cmp_ne_u32_e32 vcc_lo, 0, v4
	s_wait_alu 0xfffd
	v_cndmask_b32_e64 v4, 0, 1, vcc_lo
	s_delay_alu instid0(VALU_DEP_1) | instskip(SKIP_1) | instid1(VALU_DEP_2)
	v_and_or_b32 v4, 0xffe, v7, v4
	v_bfe_u32 v7, v8, 20, 11
	v_or_b32_e32 v16, 0x1000, v4
	s_delay_alu instid0(VALU_DEP_2) | instskip(SKIP_2) | instid1(VALU_DEP_3)
	v_sub_nc_u32_e32 v15, 0x3f1, v7
	v_add_nc_u32_e32 v7, 0xfffffc10, v7
	v_cmp_ne_u32_e64 s2, 0, v4
	v_med3_i32 v15, v15, 0, 13
	s_delay_alu instid0(VALU_DEP_1) | instskip(NEXT) | instid1(VALU_DEP_1)
	v_lshrrev_b32_e32 v18, v15, v16
	v_lshlrev_b32_e32 v15, v15, v18
	s_delay_alu instid0(VALU_DEP_1) | instskip(SKIP_4) | instid1(VALU_DEP_2)
	v_cmp_ne_u32_e32 vcc_lo, v15, v16
	v_lshl_or_b32 v16, v7, 12, v4
	s_wait_alu 0xfffd
	v_cndmask_b32_e64 v15, 0, 1, vcc_lo
	v_cmp_gt_i32_e32 vcc_lo, 1, v7
	v_or_b32_e32 v15, v18, v15
	v_lshl_or_b32 v18, v12, 12, v6
	s_wait_alu 0xfffd
	s_delay_alu instid0(VALU_DEP_2) | instskip(SKIP_2) | instid1(VALU_DEP_2)
	v_cndmask_b32_e32 v15, v16, v15, vcc_lo
	v_cndmask_b32_e64 v16, 0, 1, s0
	v_cmp_gt_i32_e32 vcc_lo, 1, v12
	v_or_b32_e32 v16, v20, v16
	scratch_load_b32 v20, off, off offset:176 th:TH_LOAD_LU ; 4-byte Folded Reload
	s_wait_alu 0xfffd
	v_cndmask_b32_e32 v16, v18, v16, vcc_lo
	v_and_b32_e32 v18, 7, v15
	s_delay_alu instid0(VALU_DEP_2) | instskip(NEXT) | instid1(VALU_DEP_2)
	v_and_b32_e32 v4, 7, v16
	v_cmp_lt_i32_e32 vcc_lo, 5, v18
	v_cmp_eq_u32_e64 s0, 3, v18
	s_delay_alu instid0(VALU_DEP_3) | instskip(SKIP_2) | instid1(VALU_DEP_4)
	v_cmp_lt_i32_e64 s3, 5, v4
	v_cmp_eq_u32_e64 s4, 3, v4
	v_lshrrev_b32_e32 v4, 2, v15
	s_or_b32 vcc_lo, s0, vcc_lo
	v_cndmask_b32_e64 v15, 0, 1, s2
	s_delay_alu instid0(VALU_DEP_3)
	s_or_b32 s0, s4, s3
	s_wait_alu 0xfffe
	v_add_co_ci_u32_e32 v4, vcc_lo, 0, v4, vcc_lo
	v_cmp_gt_i32_e32 vcc_lo, 31, v7
	v_lshl_or_b32 v15, v15, 9, 0x7c00
	s_wait_alu 0xfffd
	s_delay_alu instid0(VALU_DEP_3) | instskip(SKIP_3) | instid1(VALU_DEP_3)
	v_cndmask_b32_e32 v4, 0x7c00, v4, vcc_lo
	v_cmp_eq_u32_e32 vcc_lo, 0x40f, v7
	v_lshrrev_b32_e32 v7, 2, v16
	s_wait_alu 0xfffd
	v_cndmask_b32_e32 v4, v4, v15, vcc_lo
	v_cmp_ne_u32_e32 vcc_lo, 0, v6
	s_delay_alu instid0(VALU_DEP_3)
	v_add_co_ci_u32_e64 v7, s0, 0, v7, s0
	v_lshrrev_b32_e32 v6, 16, v8
	v_cmp_gt_i32_e64 s0, 31, v12
	s_wait_alu 0xfffd
	v_cndmask_b32_e64 v8, 0, 1, vcc_lo
	v_cmp_eq_u32_e32 vcc_lo, 0x40f, v12
	v_and_or_b32 v4, 0x8000, v6, v4
	s_wait_alu 0xf1ff
	v_cndmask_b32_e64 v7, 0x7c00, v7, s0
	v_lshl_or_b32 v8, v8, 9, 0x7c00
	s_delay_alu instid0(VALU_DEP_3) | instskip(SKIP_1) | instid1(VALU_DEP_2)
	v_and_b32_e32 v4, 0xffff, v4
	s_wait_alu 0xfffd
	v_cndmask_b32_e32 v7, v7, v8, vcc_lo
	v_lshrrev_b32_e32 v8, 16, v13
	v_add_co_u32 v18, vcc_lo, v10, s14
	s_wait_alu 0xfffd
	v_add_co_ci_u32_e32 v19, vcc_lo, s15, v11, vcc_lo
	s_delay_alu instid0(VALU_DEP_3) | instskip(NEXT) | instid1(VALU_DEP_1)
	v_and_or_b32 v6, 0x8000, v8, v7
	v_lshl_or_b32 v4, v6, 16, v4
	global_store_b32 v[10:11], v4, off
	ds_load_2addr_b32 v[10:11], v208 offset0:152 offset1:201
	s_wait_dscnt 0x0
	v_lshrrev_b32_e32 v25, 16, v10
	v_mul_f16_e32 v4, v33, v10
	s_delay_alu instid0(VALU_DEP_1) | instskip(NEXT) | instid1(VALU_DEP_1)
	v_fma_f16 v4, v30, v25, -v4
	v_cvt_f32_f16_e32 v4, v4
	s_delay_alu instid0(VALU_DEP_1) | instskip(NEXT) | instid1(VALU_DEP_1)
	v_cvt_f64_f32_e32 v[6:7], v4
	v_mul_f64_e32 v[15:16], s[10:11], v[6:7]
	s_delay_alu instid0(VALU_DEP_1) | instskip(SKIP_3) | instid1(VALU_DEP_4)
	v_and_or_b32 v4, 0x1ff, v16, v15
	v_lshrrev_b32_e32 v6, 8, v16
	v_bfe_u32 v27, v16, 20, 11
	v_lshrrev_b32_e32 v16, 16, v16
	v_cmp_ne_u32_e32 vcc_lo, 0, v4
	s_wait_alu 0xfffd
	v_cndmask_b32_e64 v4, 0, 1, vcc_lo
	s_delay_alu instid0(VALU_DEP_1) | instskip(SKIP_1) | instid1(VALU_DEP_2)
	v_and_or_b32 v26, 0xffe, v6, v4
	v_sub_nc_u32_e32 v4, 0x3f1, v27
	v_or_b32_e32 v6, 0x1000, v26
	s_delay_alu instid0(VALU_DEP_2) | instskip(NEXT) | instid1(VALU_DEP_1)
	v_med3_i32 v4, v4, 0, 13
	v_lshrrev_b32_e32 v28, v4, v6
	s_delay_alu instid0(VALU_DEP_1) | instskip(NEXT) | instid1(VALU_DEP_1)
	v_lshlrev_b32_e32 v4, v4, v28
	v_cmp_ne_u32_e64 s0, v4, v6
	v_cvt_f32_f16_e32 v4, v24
	s_delay_alu instid0(VALU_DEP_1) | instskip(NEXT) | instid1(VALU_DEP_1)
	v_cvt_f64_f32_e32 v[6:7], v4
	v_mul_f64_e32 v[7:8], s[10:11], v[6:7]
	s_delay_alu instid0(VALU_DEP_1) | instskip(SKIP_3) | instid1(VALU_DEP_4)
	v_and_or_b32 v4, 0x1ff, v8, v7
	v_lshrrev_b32_e32 v6, 8, v8
	v_bfe_u32 v13, v8, 20, 11
	v_lshrrev_b32_e32 v8, 16, v8
	v_cmp_ne_u32_e32 vcc_lo, 0, v4
	s_wait_alu 0xfffd
	v_cndmask_b32_e64 v4, 0, 1, vcc_lo
	s_delay_alu instid0(VALU_DEP_1) | instskip(SKIP_2) | instid1(VALU_DEP_3)
	v_and_or_b32 v4, 0xffe, v6, v4
	v_sub_nc_u32_e32 v6, 0x3f1, v13
	v_add_nc_u32_e32 v13, 0xfffffc10, v13
	v_or_b32_e32 v7, 0x1000, v4
	s_delay_alu instid0(VALU_DEP_3) | instskip(NEXT) | instid1(VALU_DEP_1)
	v_med3_i32 v6, v6, 0, 13
	v_lshrrev_b32_e32 v15, v6, v7
	s_delay_alu instid0(VALU_DEP_1) | instskip(NEXT) | instid1(VALU_DEP_1)
	v_lshlrev_b32_e32 v6, v6, v15
	v_cmp_ne_u32_e32 vcc_lo, v6, v7
	scratch_load_b32 v7, off, off offset:180 th:TH_LOAD_LU ; 4-byte Folded Reload
	v_lshrrev_b32_e32 v6, 16, v9
	s_wait_loadcnt 0x0
	s_delay_alu instid0(VALU_DEP_1) | instskip(SKIP_1) | instid1(VALU_DEP_2)
	v_mul_f16_e32 v12, v7, v6
	v_mul_f16_e32 v7, v7, v9
	v_fmac_f16_e32 v12, v20, v9
	s_delay_alu instid0(VALU_DEP_2) | instskip(SKIP_1) | instid1(VALU_DEP_1)
	v_fma_f16 v24, v20, v6, -v7
	v_cvt_f64_f32_e32 v[6:7], v2
	v_mul_f64_e32 v[6:7], s[10:11], v[6:7]
	s_delay_alu instid0(VALU_DEP_1) | instskip(SKIP_1) | instid1(VALU_DEP_2)
	v_and_or_b32 v2, 0x1ff, v7, v6
	v_lshrrev_b32_e32 v6, 8, v7
	v_cmp_ne_u32_e64 s2, 0, v2
	s_wait_alu 0xf1ff
	s_delay_alu instid0(VALU_DEP_1) | instskip(NEXT) | instid1(VALU_DEP_1)
	v_cndmask_b32_e64 v2, 0, 1, s2
	v_and_or_b32 v2, 0xffe, v6, v2
	v_bfe_u32 v6, v7, 20, 11
	v_lshrrev_b32_e32 v7, 16, v7
	s_delay_alu instid0(VALU_DEP_3) | instskip(NEXT) | instid1(VALU_DEP_3)
	v_or_b32_e32 v20, 0x1000, v2
	v_sub_nc_u32_e32 v9, 0x3f1, v6
	v_add_nc_u32_e32 v6, 0xfffffc10, v6
	s_delay_alu instid0(VALU_DEP_2) | instskip(NEXT) | instid1(VALU_DEP_1)
	v_med3_i32 v9, v9, 0, 13
	v_lshrrev_b32_e32 v29, v9, v20
	s_delay_alu instid0(VALU_DEP_1) | instskip(NEXT) | instid1(VALU_DEP_1)
	v_lshlrev_b32_e32 v9, v9, v29
	v_cmp_ne_u32_e64 s2, v9, v20
	v_lshl_or_b32 v20, v6, 12, v2
	s_wait_alu 0xf1ff
	s_delay_alu instid0(VALU_DEP_2) | instskip(SKIP_1) | instid1(VALU_DEP_2)
	v_cndmask_b32_e64 v9, 0, 1, s2
	v_cmp_gt_i32_e64 s2, 1, v6
	v_or_b32_e32 v9, v29, v9
	s_wait_alu 0xf1ff
	s_delay_alu instid0(VALU_DEP_1) | instskip(NEXT) | instid1(VALU_DEP_1)
	v_cndmask_b32_e64 v9, v20, v9, s2
	v_and_b32_e32 v20, 7, v9
	v_lshrrev_b32_e32 v9, 2, v9
	s_delay_alu instid0(VALU_DEP_2) | instskip(SKIP_4) | instid1(VALU_DEP_4)
	v_cmp_lt_i32_e64 s2, 5, v20
	v_cmp_eq_u32_e64 s3, 3, v20
	v_cndmask_b32_e64 v20, 0, 1, s1
	v_cmp_ne_u32_e64 s1, 0, v2
	v_add_nc_u32_e32 v2, 0xfffffc10, v22
	s_or_b32 s2, s3, s2
	s_delay_alu instid0(VALU_DEP_3)
	v_or_b32_e32 v20, v23, v20
	s_wait_alu 0xfffe
	v_add_co_ci_u32_e64 v9, s2, 0, v9, s2
	v_lshl_or_b32 v22, v2, 12, v21
	v_cmp_gt_i32_e64 s4, 1, v2
	v_cmp_gt_i32_e64 s2, 31, v6
	v_cmp_ne_u32_e64 s3, 0, v21
	s_wait_alu 0xf1ff
	s_delay_alu instid0(VALU_DEP_3) | instskip(SKIP_3) | instid1(VALU_DEP_3)
	v_cndmask_b32_e64 v20, v22, v20, s4
	v_cndmask_b32_e64 v22, 0, 1, s1
	;; [unrolled: 1-line block ×3, first 2 shown]
	v_cmp_eq_u32_e64 s1, 0x40f, v6
	v_lshl_or_b32 v22, v22, 9, 0x7c00
	s_wait_alu 0xf1ff
	s_delay_alu instid0(VALU_DEP_1) | instskip(SKIP_1) | instid1(VALU_DEP_2)
	v_cndmask_b32_e64 v6, v9, v22, s1
	v_and_b32_e32 v9, 7, v20
	v_and_or_b32 v6, 0x8000, v7, v6
	s_delay_alu instid0(VALU_DEP_2) | instskip(SKIP_4) | instid1(VALU_DEP_4)
	v_cmp_lt_i32_e64 s1, 5, v9
	v_cmp_eq_u32_e64 s2, 3, v9
	v_lshrrev_b32_e32 v9, 2, v20
	v_cndmask_b32_e64 v20, 0, 1, s3
	v_and_b32_e32 v6, 0xffff, v6
	s_or_b32 s1, s2, s1
	s_wait_alu 0xfffe
	v_add_co_ci_u32_e64 v9, s1, 0, v9, s1
	v_cmp_gt_i32_e64 s1, 31, v2
	v_lshl_or_b32 v20, v20, 9, 0x7c00
	s_wait_alu 0xf1ff
	s_delay_alu instid0(VALU_DEP_2) | instskip(SKIP_2) | instid1(VALU_DEP_1)
	v_cndmask_b32_e64 v9, 0x7c00, v9, s1
	v_cmp_eq_u32_e64 s1, 0x40f, v2
	s_wait_alu 0xf1ff
	v_cndmask_b32_e64 v2, v9, v20, s1
	v_lshrrev_b32_e32 v9, 16, v17
	v_add_co_u32 v17, s1, v18, s14
	s_delay_alu instid0(VALU_DEP_2) | instskip(NEXT) | instid1(VALU_DEP_1)
	v_and_or_b32 v2, 0x8000, v9, v2
	v_lshl_or_b32 v2, v2, 16, v6
	ds_load_2addr_b32 v[6:7], v169 offset0:70 offset1:119
	global_store_b32 v[18:19], v2, off
	s_wait_alu 0xf1ff
	v_add_co_ci_u32_e64 v18, s1, s15, v19, s1
	s_wait_dscnt 0x0
	v_lshrrev_b32_e32 v2, 16, v6
	v_mul_f16_e32 v9, v32, v6
	s_delay_alu instid0(VALU_DEP_1)
	v_fma_f16 v9, v31, v2, -v9
	v_mul_f16_e32 v2, v32, v2
	scratch_load_b32 v32, off, off offset:152 th:TH_LOAD_LU ; 4-byte Folded Reload
	v_cvt_f32_f16_e32 v9, v9
	v_fmac_f16_e32 v2, v31, v6
	scratch_load_b32 v31, off, off offset:144 th:TH_LOAD_LU ; 4-byte Folded Reload
	v_cvt_f64_f32_e32 v[19:20], v9
	v_cvt_f32_f16_e32 v2, v2
	s_delay_alu instid0(VALU_DEP_2) | instskip(NEXT) | instid1(VALU_DEP_1)
	v_mul_f64_e32 v[19:20], s[10:11], v[19:20]
	v_and_or_b32 v9, 0x1ff, v20, v19
	v_lshrrev_b32_e32 v19, 8, v20
	v_bfe_u32 v21, v20, 20, 11
	s_delay_alu instid0(VALU_DEP_3) | instskip(SKIP_1) | instid1(VALU_DEP_1)
	v_cmp_ne_u32_e64 s1, 0, v9
	s_wait_alu 0xf1ff
	v_cndmask_b32_e64 v9, 0, 1, s1
	s_delay_alu instid0(VALU_DEP_1) | instskip(SKIP_1) | instid1(VALU_DEP_2)
	v_and_or_b32 v19, 0xffe, v19, v9
	v_sub_nc_u32_e32 v9, 0x3f1, v21
	v_or_b32_e32 v22, 0x1000, v19
	s_delay_alu instid0(VALU_DEP_2) | instskip(NEXT) | instid1(VALU_DEP_1)
	v_med3_i32 v9, v9, 0, 13
	v_lshrrev_b32_e32 v23, v9, v22
	s_delay_alu instid0(VALU_DEP_1) | instskip(NEXT) | instid1(VALU_DEP_1)
	v_lshlrev_b32_e32 v9, v9, v23
	v_cmp_ne_u32_e64 s1, v9, v22
	v_mul_f16_e32 v9, v33, v25
	scratch_load_b32 v33, off, off offset:156 th:TH_LOAD_LU ; 4-byte Folded Reload
	v_fmac_f16_e32 v9, v30, v10
	s_delay_alu instid0(VALU_DEP_1) | instskip(NEXT) | instid1(VALU_DEP_1)
	v_cvt_f32_f16_e32 v9, v9
	v_cvt_f64_f32_e32 v[9:10], v9
	s_delay_alu instid0(VALU_DEP_1) | instskip(NEXT) | instid1(VALU_DEP_1)
	v_mul_f64_e32 v[9:10], s[10:11], v[9:10]
	v_and_or_b32 v9, 0x1ff, v10, v9
	v_lshrrev_b32_e32 v22, 8, v10
	s_delay_alu instid0(VALU_DEP_2) | instskip(SKIP_1) | instid1(VALU_DEP_1)
	v_cmp_ne_u32_e64 s2, 0, v9
	s_wait_alu 0xf1ff
	v_cndmask_b32_e64 v9, 0, 1, s2
	s_delay_alu instid0(VALU_DEP_1) | instskip(SKIP_2) | instid1(VALU_DEP_3)
	v_and_or_b32 v9, 0xffe, v22, v9
	v_bfe_u32 v22, v10, 20, 11
	v_lshrrev_b32_e32 v10, 16, v10
	v_or_b32_e32 v29, 0x1000, v9
	s_delay_alu instid0(VALU_DEP_3) | instskip(SKIP_1) | instid1(VALU_DEP_2)
	v_sub_nc_u32_e32 v25, 0x3f1, v22
	v_add_nc_u32_e32 v22, 0xfffffc10, v22
	v_med3_i32 v25, v25, 0, 13
	s_delay_alu instid0(VALU_DEP_1) | instskip(NEXT) | instid1(VALU_DEP_1)
	v_lshrrev_b32_e32 v30, v25, v29
	v_lshlrev_b32_e32 v25, v25, v30
	s_delay_alu instid0(VALU_DEP_1) | instskip(SKIP_2) | instid1(VALU_DEP_2)
	v_cmp_ne_u32_e64 s2, v25, v29
	v_lshl_or_b32 v29, v22, 12, v9
	s_wait_alu 0xf1ff
	v_cndmask_b32_e64 v25, 0, 1, s2
	v_cmp_gt_i32_e64 s2, 1, v22
	s_delay_alu instid0(VALU_DEP_2) | instskip(SKIP_1) | instid1(VALU_DEP_1)
	v_or_b32_e32 v25, v30, v25
	s_wait_alu 0xf1ff
	v_cndmask_b32_e64 v25, v29, v25, s2
	s_delay_alu instid0(VALU_DEP_1) | instskip(SKIP_1) | instid1(VALU_DEP_2)
	v_and_b32_e32 v29, 7, v25
	v_lshrrev_b32_e32 v25, 2, v25
	v_cmp_lt_i32_e64 s2, 5, v29
	v_cmp_eq_u32_e64 s3, 3, v29
	v_cndmask_b32_e64 v29, 0, 1, s0
	v_cmp_ne_u32_e64 s0, 0, v9
	v_add_nc_u32_e32 v9, 0xfffffc10, v27
	s_delay_alu instid0(VALU_DEP_4) | instskip(NEXT) | instid1(VALU_DEP_3)
	s_or_b32 s2, s3, s2
	v_or_b32_e32 v28, v28, v29
	s_wait_alu 0xfffe
	v_add_co_ci_u32_e64 v25, s2, 0, v25, s2
	v_lshl_or_b32 v27, v9, 12, v26
	v_cmp_gt_i32_e64 s4, 1, v9
	v_cmp_gt_i32_e64 s2, 31, v22
	v_cmp_ne_u32_e64 s3, 0, v26
	s_wait_alu 0xf1ff
	s_delay_alu instid0(VALU_DEP_3)
	v_cndmask_b32_e64 v27, v27, v28, s4
	v_cndmask_b32_e64 v28, 0, 1, s0
	;; [unrolled: 1-line block ×3, first 2 shown]
	v_cmp_eq_u32_e64 s0, 0x40f, v22
	v_cndmask_b32_e64 v26, 0, 1, s3
	v_cmp_gt_i32_e64 s3, 1, v13
	v_lshl_or_b32 v28, v28, 9, 0x7c00
	s_delay_alu instid0(VALU_DEP_3) | instskip(SKIP_1) | instid1(VALU_DEP_2)
	v_lshl_or_b32 v26, v26, 9, 0x7c00
	s_wait_alu 0xf1ff
	v_cndmask_b32_e64 v22, v25, v28, s0
	v_and_b32_e32 v25, 7, v27
	s_delay_alu instid0(VALU_DEP_2) | instskip(NEXT) | instid1(VALU_DEP_2)
	v_and_or_b32 v10, 0x8000, v10, v22
	v_cmp_lt_i32_e64 s0, 5, v25
	v_cmp_eq_u32_e64 s2, 3, v25
	v_lshrrev_b32_e32 v25, 2, v27
	s_delay_alu instid0(VALU_DEP_4) | instskip(NEXT) | instid1(VALU_DEP_3)
	v_and_b32_e32 v10, 0xffff, v10
	s_or_b32 s0, s2, s0
	s_wait_alu 0xfffe
	s_delay_alu instid0(VALU_DEP_2) | instskip(SKIP_2) | instid1(VALU_DEP_1)
	v_add_co_ci_u32_e64 v25, s0, 0, v25, s0
	v_cmp_gt_i32_e64 s0, 31, v9
	s_wait_alu 0xf1ff
	v_cndmask_b32_e64 v25, 0x7c00, v25, s0
	v_cmp_eq_u32_e64 s0, 0x40f, v9
	s_wait_alu 0xf1ff
	s_delay_alu instid0(VALU_DEP_1) | instskip(SKIP_2) | instid1(VALU_DEP_1)
	v_cndmask_b32_e64 v9, v25, v26, s0
	scratch_load_b32 v26, off, off offset:148 th:TH_LOAD_LU ; 4-byte Folded Reload
	v_and_or_b32 v9, 0x8000, v16, v9
	v_lshl_or_b32 v9, v9, 16, v10
	global_store_b32 v[17:18], v9, off
	v_add_co_u32 v9, s0, v17, s14
	v_cvt_f64_f32_e32 v[16:17], v14
	s_wait_alu 0xf1ff
	v_add_co_ci_u32_e64 v10, s0, s15, v18, s0
	s_delay_alu instid0(VALU_DEP_2) | instskip(NEXT) | instid1(VALU_DEP_1)
	v_mul_f64_e32 v[16:17], s[10:11], v[16:17]
	v_and_or_b32 v14, 0x1ff, v17, v16
	v_lshrrev_b32_e32 v16, 8, v17
	s_delay_alu instid0(VALU_DEP_2) | instskip(SKIP_1) | instid1(VALU_DEP_1)
	v_cmp_ne_u32_e64 s0, 0, v14
	s_wait_alu 0xf1ff
	v_cndmask_b32_e64 v14, 0, 1, s0
	s_delay_alu instid0(VALU_DEP_1) | instskip(SKIP_1) | instid1(VALU_DEP_2)
	v_and_or_b32 v14, 0xffe, v16, v14
	v_bfe_u32 v16, v17, 20, 11
	v_or_b32_e32 v22, 0x1000, v14
	s_delay_alu instid0(VALU_DEP_2) | instskip(SKIP_1) | instid1(VALU_DEP_2)
	v_sub_nc_u32_e32 v18, 0x3f1, v16
	v_add_nc_u32_e32 v16, 0xfffffc10, v16
	v_med3_i32 v18, v18, 0, 13
	s_delay_alu instid0(VALU_DEP_1) | instskip(NEXT) | instid1(VALU_DEP_1)
	v_lshrrev_b32_e32 v25, v18, v22
	v_lshlrev_b32_e32 v18, v18, v25
	s_delay_alu instid0(VALU_DEP_1) | instskip(SKIP_2) | instid1(VALU_DEP_2)
	v_cmp_ne_u32_e64 s0, v18, v22
	v_lshl_or_b32 v22, v16, 12, v14
	s_wait_alu 0xf1ff
	v_cndmask_b32_e64 v18, 0, 1, s0
	v_cmp_gt_i32_e64 s0, 1, v16
	s_delay_alu instid0(VALU_DEP_2) | instskip(SKIP_1) | instid1(VALU_DEP_1)
	v_or_b32_e32 v18, v25, v18
	s_wait_alu 0xf1ff
	v_cndmask_b32_e64 v18, v22, v18, s0
	s_delay_alu instid0(VALU_DEP_1) | instskip(NEXT) | instid1(VALU_DEP_1)
	v_and_b32_e32 v22, 7, v18
	v_cmp_lt_i32_e64 s0, 5, v22
	v_cmp_eq_u32_e64 s2, 3, v22
	s_wait_alu 0xfffd
	v_cndmask_b32_e64 v22, 0, 1, vcc_lo
	v_cmp_ne_u32_e32 vcc_lo, 0, v14
	v_lshl_or_b32 v14, v13, 12, v4
	s_or_b32 s0, s2, s0
	s_delay_alu instid0(VALU_DEP_3)
	v_or_b32_e32 v15, v15, v22
	v_cmp_ne_u32_e64 s2, 0, v4
	v_lshrrev_b32_e32 v4, 16, v17
	scratch_load_b32 v17, off, off offset:164 th:TH_LOAD_LU ; 4-byte Folded Reload
	v_cndmask_b32_e64 v14, v14, v15, s3
	v_lshrrev_b32_e32 v15, 2, v18
	s_wait_alu 0xfffd
	v_cndmask_b32_e64 v18, 0, 1, vcc_lo
	v_cmp_eq_u32_e32 vcc_lo, 0x40f, v16
	s_wait_alu 0xfffe
	v_add_co_ci_u32_e64 v15, s0, 0, v15, s0
	v_cmp_gt_i32_e64 s0, 31, v16
	v_lshl_or_b32 v18, v18, 9, 0x7c00
	v_and_b32_e32 v16, 7, v14
	v_lshrrev_b32_e32 v14, 2, v14
	s_wait_alu 0xf1ff
	v_cndmask_b32_e64 v15, 0x7c00, v15, s0
	s_delay_alu instid0(VALU_DEP_3) | instskip(SKIP_1) | instid1(VALU_DEP_2)
	v_cmp_eq_u32_e64 s0, 3, v16
	s_wait_alu 0xfffd
	v_cndmask_b32_e32 v15, v15, v18, vcc_lo
	scratch_load_b32 v18, off, off offset:160 th:TH_LOAD_LU ; 4-byte Folded Reload
	v_cmp_lt_i32_e32 vcc_lo, 5, v16
	v_cndmask_b32_e64 v16, 0, 1, s2
	v_and_or_b32 v4, 0x8000, v4, v15
	s_or_b32 vcc_lo, s0, vcc_lo
	s_delay_alu instid0(VALU_DEP_2)
	v_lshl_or_b32 v16, v16, 9, 0x7c00
	s_wait_alu 0xfffe
	v_add_co_ci_u32_e32 v14, vcc_lo, 0, v14, vcc_lo
	v_cmp_gt_i32_e32 vcc_lo, 31, v13
	v_and_b32_e32 v4, 0xffff, v4
	s_wait_alu 0xfffd
	s_delay_alu instid0(VALU_DEP_3) | instskip(SKIP_2) | instid1(VALU_DEP_2)
	v_cndmask_b32_e32 v14, 0x7c00, v14, vcc_lo
	v_cmp_eq_u32_e32 vcc_lo, 0x40f, v13
	s_wait_alu 0xfffd
	v_cndmask_b32_e32 v13, v14, v16, vcc_lo
	v_add_co_u32 v14, vcc_lo, v9, s14
	s_wait_alu 0xfffd
	v_add_co_ci_u32_e32 v15, vcc_lo, s15, v10, vcc_lo
	s_delay_alu instid0(VALU_DEP_3) | instskip(NEXT) | instid1(VALU_DEP_1)
	v_and_or_b32 v8, 0x8000, v8, v13
	v_lshl_or_b32 v4, v8, 16, v4
	global_store_b32 v[9:10], v4, off
	v_cvt_f32_f16_e32 v4, v24
	s_delay_alu instid0(VALU_DEP_1) | instskip(NEXT) | instid1(VALU_DEP_1)
	v_cvt_f64_f32_e32 v[8:9], v4
	v_mul_f64_e32 v[8:9], s[10:11], v[8:9]
	s_delay_alu instid0(VALU_DEP_1) | instskip(SKIP_3) | instid1(VALU_DEP_4)
	v_and_or_b32 v4, 0x1ff, v9, v8
	v_lshrrev_b32_e32 v8, 8, v9
	v_bfe_u32 v13, v9, 20, 11
	v_lshrrev_b32_e32 v9, 16, v9
	v_cmp_ne_u32_e32 vcc_lo, 0, v4
	s_wait_alu 0xfffd
	v_cndmask_b32_e64 v4, 0, 1, vcc_lo
	s_delay_alu instid0(VALU_DEP_1) | instskip(SKIP_1) | instid1(VALU_DEP_2)
	v_and_or_b32 v10, 0xffe, v8, v4
	v_sub_nc_u32_e32 v4, 0x3f1, v13
	v_or_b32_e32 v8, 0x1000, v10
	s_delay_alu instid0(VALU_DEP_2) | instskip(NEXT) | instid1(VALU_DEP_1)
	v_med3_i32 v4, v4, 0, 13
	v_lshrrev_b32_e32 v16, v4, v8
	s_delay_alu instid0(VALU_DEP_1) | instskip(NEXT) | instid1(VALU_DEP_1)
	v_lshlrev_b32_e32 v4, v4, v16
	v_cmp_ne_u32_e32 vcc_lo, v4, v8
	v_lshrrev_b32_e32 v4, 16, v5
	s_wait_loadcnt 0x1
	s_delay_alu instid0(VALU_DEP_1) | instskip(SKIP_2) | instid1(VALU_DEP_2)
	v_mul_f16_e32 v8, v17, v4
	v_mul_f16_e32 v17, v17, v5
	s_wait_loadcnt 0x0
	v_fmac_f16_e32 v8, v18, v5
	s_delay_alu instid0(VALU_DEP_2) | instskip(SKIP_1) | instid1(VALU_DEP_3)
	v_fma_f16 v17, v18, v4, -v17
	v_cvt_f64_f32_e32 v[4:5], v2
	v_cvt_f32_f16_e32 v8, v8
	s_delay_alu instid0(VALU_DEP_2) | instskip(NEXT) | instid1(VALU_DEP_1)
	v_mul_f64_e32 v[4:5], s[10:11], v[4:5]
	v_and_or_b32 v2, 0x1ff, v5, v4
	v_lshrrev_b32_e32 v4, 8, v5
	s_delay_alu instid0(VALU_DEP_2) | instskip(SKIP_1) | instid1(VALU_DEP_1)
	v_cmp_ne_u32_e64 s0, 0, v2
	s_wait_alu 0xf1ff
	v_cndmask_b32_e64 v2, 0, 1, s0
	s_delay_alu instid0(VALU_DEP_1) | instskip(SKIP_2) | instid1(VALU_DEP_3)
	v_and_or_b32 v2, 0xffe, v4, v2
	v_bfe_u32 v4, v5, 20, 11
	v_lshrrev_b32_e32 v5, 16, v5
	v_or_b32_e32 v18, 0x1000, v2
	s_delay_alu instid0(VALU_DEP_3) | instskip(SKIP_1) | instid1(VALU_DEP_2)
	v_sub_nc_u32_e32 v6, 0x3f1, v4
	v_add_nc_u32_e32 v4, 0xfffffc10, v4
	v_med3_i32 v6, v6, 0, 13
	s_delay_alu instid0(VALU_DEP_1) | instskip(NEXT) | instid1(VALU_DEP_1)
	v_lshrrev_b32_e32 v22, v6, v18
	v_lshlrev_b32_e32 v6, v6, v22
	s_delay_alu instid0(VALU_DEP_1) | instskip(SKIP_2) | instid1(VALU_DEP_2)
	v_cmp_ne_u32_e64 s0, v6, v18
	v_lshl_or_b32 v18, v4, 12, v2
	s_wait_alu 0xf1ff
	v_cndmask_b32_e64 v6, 0, 1, s0
	v_cmp_gt_i32_e64 s0, 1, v4
	s_delay_alu instid0(VALU_DEP_2) | instskip(SKIP_1) | instid1(VALU_DEP_1)
	v_or_b32_e32 v6, v22, v6
	s_wait_alu 0xf1ff
	v_cndmask_b32_e64 v6, v18, v6, s0
	s_delay_alu instid0(VALU_DEP_1) | instskip(SKIP_1) | instid1(VALU_DEP_2)
	v_and_b32_e32 v18, 7, v6
	v_lshrrev_b32_e32 v6, 2, v6
	v_cmp_lt_i32_e64 s0, 5, v18
	v_cmp_eq_u32_e64 s2, 3, v18
	v_cndmask_b32_e64 v18, 0, 1, s1
	v_cmp_ne_u32_e64 s1, 0, v2
	v_add_nc_u32_e32 v2, 0xfffffc10, v21
	s_delay_alu instid0(VALU_DEP_4) | instskip(NEXT) | instid1(VALU_DEP_3)
	s_or_b32 s0, s2, s0
	v_or_b32_e32 v18, v23, v18
	s_wait_alu 0xfffe
	v_add_co_ci_u32_e64 v6, s0, 0, v6, s0
	v_lshl_or_b32 v21, v2, 12, v19
	v_cmp_gt_i32_e64 s3, 1, v2
	v_cmp_gt_i32_e64 s0, 31, v4
	v_cmp_ne_u32_e64 s2, 0, v19
	s_wait_alu 0xf1ff
	s_delay_alu instid0(VALU_DEP_3) | instskip(SKIP_3) | instid1(VALU_DEP_3)
	v_cndmask_b32_e64 v18, v21, v18, s3
	v_cndmask_b32_e64 v21, 0, 1, s1
	;; [unrolled: 1-line block ×3, first 2 shown]
	v_cmp_eq_u32_e64 s0, 0x40f, v4
	v_lshl_or_b32 v21, v21, 9, 0x7c00
	s_wait_alu 0xf1ff
	s_delay_alu instid0(VALU_DEP_1) | instskip(SKIP_1) | instid1(VALU_DEP_2)
	v_cndmask_b32_e64 v4, v6, v21, s0
	v_and_b32_e32 v6, 7, v18
	v_and_or_b32 v4, 0x8000, v5, v4
	s_delay_alu instid0(VALU_DEP_2) | instskip(SKIP_4) | instid1(VALU_DEP_4)
	v_cmp_lt_i32_e64 s0, 5, v6
	v_cmp_eq_u32_e64 s1, 3, v6
	v_lshrrev_b32_e32 v6, 2, v18
	v_cndmask_b32_e64 v18, 0, 1, s2
	v_and_b32_e32 v4, 0xffff, v4
	s_or_b32 s0, s1, s0
	s_wait_alu 0xfffe
	v_add_co_ci_u32_e64 v6, s0, 0, v6, s0
	v_cmp_gt_i32_e64 s0, 31, v2
	v_lshl_or_b32 v18, v18, 9, 0x7c00
	s_wait_alu 0xf1ff
	s_delay_alu instid0(VALU_DEP_2) | instskip(SKIP_2) | instid1(VALU_DEP_1)
	v_cndmask_b32_e64 v6, 0x7c00, v6, s0
	v_cmp_eq_u32_e64 s0, 0x40f, v2
	s_wait_alu 0xf1ff
	v_cndmask_b32_e64 v2, v6, v18, s0
	v_lshrrev_b32_e32 v6, 16, v20
	v_add_co_u32 v18, s0, v14, s14
	s_wait_alu 0xf1ff
	v_add_co_ci_u32_e64 v19, s0, s15, v15, s0
	s_delay_alu instid0(VALU_DEP_3) | instskip(NEXT) | instid1(VALU_DEP_1)
	v_and_or_b32 v2, 0x8000, v6, v2
	v_lshl_or_b32 v2, v2, 16, v4
	ds_load_2addr_b32 v[4:5], v152 offset0:196 offset1:245
	global_store_b32 v[14:15], v2, off
	s_wait_dscnt 0x0
	v_lshrrev_b32_e32 v22, 16, v4
	v_mul_f16_e32 v2, v33, v4
	s_delay_alu instid0(VALU_DEP_1) | instskip(NEXT) | instid1(VALU_DEP_1)
	v_fma_f16 v2, v32, v22, -v2
	v_cvt_f32_f16_e32 v2, v2
	s_delay_alu instid0(VALU_DEP_1) | instskip(NEXT) | instid1(VALU_DEP_1)
	v_cvt_f64_f32_e32 v[14:15], v2
	v_mul_f64_e32 v[20:21], s[10:11], v[14:15]
	s_delay_alu instid0(VALU_DEP_1) | instskip(SKIP_2) | instid1(VALU_DEP_3)
	v_and_or_b32 v2, 0x1ff, v21, v20
	v_lshrrev_b32_e32 v6, 8, v21
	v_bfe_u32 v23, v21, 20, 11
	v_cmp_ne_u32_e64 s0, 0, v2
	s_wait_alu 0xf1ff
	s_delay_alu instid0(VALU_DEP_1) | instskip(NEXT) | instid1(VALU_DEP_1)
	v_cndmask_b32_e64 v2, 0, 1, s0
	v_and_or_b32 v20, 0xffe, v6, v2
	v_sub_nc_u32_e32 v2, 0x3f1, v23
	s_delay_alu instid0(VALU_DEP_2) | instskip(NEXT) | instid1(VALU_DEP_2)
	v_or_b32_e32 v6, 0x1000, v20
	v_med3_i32 v2, v2, 0, 13
	s_delay_alu instid0(VALU_DEP_1) | instskip(NEXT) | instid1(VALU_DEP_1)
	v_lshrrev_b32_e32 v24, v2, v6
	v_lshlrev_b32_e32 v2, v2, v24
	s_delay_alu instid0(VALU_DEP_1) | instskip(SKIP_1) | instid1(VALU_DEP_1)
	v_cmp_ne_u32_e64 s1, v2, v6
	v_cvt_f32_f16_e32 v2, v17
	v_cvt_f64_f32_e32 v[14:15], v2
	s_delay_alu instid0(VALU_DEP_1) | instskip(NEXT) | instid1(VALU_DEP_1)
	v_mul_f64_e32 v[14:15], s[10:11], v[14:15]
	v_and_or_b32 v2, 0x1ff, v15, v14
	v_lshrrev_b32_e32 v6, 8, v15
	v_bfe_u32 v14, v15, 20, 11
	s_delay_alu instid0(VALU_DEP_3) | instskip(SKIP_1) | instid1(VALU_DEP_1)
	v_cmp_ne_u32_e64 s0, 0, v2
	s_wait_alu 0xf1ff
	v_cndmask_b32_e64 v2, 0, 1, s0
	s_delay_alu instid0(VALU_DEP_1) | instskip(SKIP_1) | instid1(VALU_DEP_2)
	v_and_or_b32 v6, 0xffe, v6, v2
	v_sub_nc_u32_e32 v2, 0x3f1, v14
	v_or_b32_e32 v25, 0x1000, v6
	s_delay_alu instid0(VALU_DEP_2) | instskip(NEXT) | instid1(VALU_DEP_1)
	v_med3_i32 v2, v2, 0, 13
	v_lshrrev_b32_e32 v17, v2, v25
	s_delay_alu instid0(VALU_DEP_1) | instskip(NEXT) | instid1(VALU_DEP_1)
	v_lshlrev_b32_e32 v2, v2, v17
	v_cmp_ne_u32_e64 s0, v2, v25
	v_lshrrev_b32_e32 v25, 16, v11
	s_delay_alu instid0(VALU_DEP_1) | instskip(SKIP_1) | instid1(VALU_DEP_2)
	v_mul_f16_e32 v2, v26, v25
	v_mul_f16_e32 v26, v26, v11
	v_fmac_f16_e32 v2, v31, v11
	v_cvt_f32_f16_e32 v11, v12
	s_delay_alu instid0(VALU_DEP_2) | instskip(NEXT) | instid1(VALU_DEP_2)
	v_cvt_f32_f16_e32 v2, v2
	v_cvt_f64_f32_e32 v[11:12], v11
	s_delay_alu instid0(VALU_DEP_1) | instskip(NEXT) | instid1(VALU_DEP_1)
	v_mul_f64_e32 v[11:12], s[10:11], v[11:12]
	v_and_or_b32 v11, 0x1ff, v12, v11
	v_lshrrev_b32_e32 v27, 8, v12
	s_delay_alu instid0(VALU_DEP_2) | instskip(SKIP_1) | instid1(VALU_DEP_1)
	v_cmp_ne_u32_e64 s2, 0, v11
	s_wait_alu 0xf1ff
	v_cndmask_b32_e64 v11, 0, 1, s2
	s_delay_alu instid0(VALU_DEP_1) | instskip(SKIP_2) | instid1(VALU_DEP_3)
	v_and_or_b32 v11, 0xffe, v27, v11
	v_bfe_u32 v27, v12, 20, 11
	v_lshrrev_b32_e32 v12, 16, v12
	v_or_b32_e32 v29, 0x1000, v11
	s_delay_alu instid0(VALU_DEP_3) | instskip(SKIP_1) | instid1(VALU_DEP_2)
	v_sub_nc_u32_e32 v28, 0x3f1, v27
	v_add_nc_u32_e32 v27, 0xfffffc10, v27
	v_med3_i32 v28, v28, 0, 13
	s_delay_alu instid0(VALU_DEP_1) | instskip(NEXT) | instid1(VALU_DEP_1)
	v_lshrrev_b32_e32 v30, v28, v29
	v_lshlrev_b32_e32 v28, v28, v30
	s_delay_alu instid0(VALU_DEP_1) | instskip(SKIP_2) | instid1(VALU_DEP_2)
	v_cmp_ne_u32_e64 s2, v28, v29
	v_lshl_or_b32 v29, v27, 12, v11
	s_wait_alu 0xf1ff
	v_cndmask_b32_e64 v28, 0, 1, s2
	v_cmp_gt_i32_e64 s2, 1, v27
	s_delay_alu instid0(VALU_DEP_2) | instskip(SKIP_1) | instid1(VALU_DEP_1)
	v_or_b32_e32 v28, v30, v28
	s_wait_alu 0xf1ff
	v_cndmask_b32_e64 v28, v29, v28, s2
	s_delay_alu instid0(VALU_DEP_1) | instskip(NEXT) | instid1(VALU_DEP_1)
	v_and_b32_e32 v29, 7, v28
	v_cmp_lt_i32_e64 s2, 5, v29
	v_cmp_eq_u32_e64 s3, 3, v29
	s_wait_alu 0xfffd
	v_cndmask_b32_e64 v29, 0, 1, vcc_lo
	v_cmp_ne_u32_e32 vcc_lo, 0, v11
	v_add_nc_u32_e32 v11, 0xfffffc10, v13
	s_or_b32 s2, s3, s2
	s_delay_alu instid0(VALU_DEP_3) | instskip(SKIP_1) | instid1(VALU_DEP_3)
	v_or_b32_e32 v16, v16, v29
	v_cmp_ne_u32_e64 s3, 0, v10
	v_lshl_or_b32 v13, v11, 12, v10
	v_cmp_gt_i32_e64 s4, 1, v11
	s_wait_alu 0xf1ff
	s_delay_alu instid0(VALU_DEP_1)
	v_cndmask_b32_e64 v13, v13, v16, s4
	v_lshrrev_b32_e32 v16, 2, v28
	s_wait_alu 0xfffd
	v_cndmask_b32_e64 v28, 0, 1, vcc_lo
	v_cmp_eq_u32_e32 vcc_lo, 0x40f, v27
	v_lshrrev_b32_e32 v10, 2, v13
	s_wait_alu 0xfffe
	v_add_co_ci_u32_e64 v16, s2, 0, v16, s2
	v_cmp_gt_i32_e64 s2, 31, v27
	v_lshl_or_b32 v28, v28, 9, 0x7c00
	v_and_b32_e32 v27, 7, v13
	v_cndmask_b32_e64 v13, 0, 1, s3
	s_wait_alu 0xf1ff
	v_cndmask_b32_e64 v16, 0x7c00, v16, s2
	s_delay_alu instid0(VALU_DEP_3) | instskip(NEXT) | instid1(VALU_DEP_3)
	v_cmp_eq_u32_e64 s2, 3, v27
	v_lshl_or_b32 v13, v13, 9, 0x7c00
	s_wait_alu 0xfffd
	s_delay_alu instid0(VALU_DEP_3)
	v_cndmask_b32_e32 v16, v16, v28, vcc_lo
	v_cmp_lt_i32_e32 vcc_lo, 5, v27
	s_or_b32 vcc_lo, s2, vcc_lo
	s_wait_alu 0xfffe
	v_add_co_ci_u32_e32 v10, vcc_lo, 0, v10, vcc_lo
	v_cmp_gt_i32_e32 vcc_lo, 31, v11
	s_wait_alu 0xfffd
	s_delay_alu instid0(VALU_DEP_2) | instskip(SKIP_3) | instid1(VALU_DEP_3)
	v_cndmask_b32_e32 v10, 0x7c00, v10, vcc_lo
	v_cmp_eq_u32_e32 vcc_lo, 0x40f, v11
	v_and_or_b32 v11, 0x8000, v12, v16
	s_wait_alu 0xfffd
	v_cndmask_b32_e32 v10, v10, v13, vcc_lo
	s_delay_alu instid0(VALU_DEP_1) | instskip(NEXT) | instid1(VALU_DEP_3)
	v_and_or_b32 v9, 0x8000, v9, v10
	v_and_b32_e32 v10, 0xffff, v11
	v_mul_f16_e32 v11, v33, v22
	s_delay_alu instid0(VALU_DEP_2) | instskip(NEXT) | instid1(VALU_DEP_2)
	v_lshl_or_b32 v9, v9, 16, v10
	v_fmac_f16_e32 v11, v32, v4
	global_store_b32 v[18:19], v9, off
	v_cvt_f32_f16_e32 v4, v11
	v_add_co_u32 v9, vcc_lo, v18, s8
	s_wait_alu 0xfffd
	v_add_co_ci_u32_e32 v10, vcc_lo, s9, v19, vcc_lo
	s_delay_alu instid0(VALU_DEP_3) | instskip(NEXT) | instid1(VALU_DEP_1)
	v_cvt_f64_f32_e32 v[11:12], v4
	v_mul_f64_e32 v[11:12], s[10:11], v[11:12]
	s_delay_alu instid0(VALU_DEP_1) | instskip(SKIP_1) | instid1(VALU_DEP_2)
	v_and_or_b32 v4, 0x1ff, v12, v11
	v_lshrrev_b32_e32 v11, 8, v12
	v_cmp_ne_u32_e32 vcc_lo, 0, v4
	s_wait_alu 0xfffd
	v_cndmask_b32_e64 v4, 0, 1, vcc_lo
	s_delay_alu instid0(VALU_DEP_1) | instskip(SKIP_2) | instid1(VALU_DEP_3)
	v_and_or_b32 v4, 0xffe, v11, v4
	v_bfe_u32 v11, v12, 20, 11
	v_lshrrev_b32_e32 v12, 16, v12
	v_or_b32_e32 v16, 0x1000, v4
	s_delay_alu instid0(VALU_DEP_3) | instskip(SKIP_1) | instid1(VALU_DEP_2)
	v_sub_nc_u32_e32 v13, 0x3f1, v11
	v_add_nc_u32_e32 v11, 0xfffffc10, v11
	v_med3_i32 v13, v13, 0, 13
	s_delay_alu instid0(VALU_DEP_1) | instskip(NEXT) | instid1(VALU_DEP_1)
	v_lshrrev_b32_e32 v18, v13, v16
	v_lshlrev_b32_e32 v13, v13, v18
	s_delay_alu instid0(VALU_DEP_1) | instskip(SKIP_4) | instid1(VALU_DEP_2)
	v_cmp_ne_u32_e32 vcc_lo, v13, v16
	v_lshl_or_b32 v16, v11, 12, v4
	s_wait_alu 0xfffd
	v_cndmask_b32_e64 v13, 0, 1, vcc_lo
	v_cmp_gt_i32_e32 vcc_lo, 1, v11
	v_or_b32_e32 v13, v18, v13
	s_wait_alu 0xfffd
	s_delay_alu instid0(VALU_DEP_1) | instskip(NEXT) | instid1(VALU_DEP_1)
	v_cndmask_b32_e32 v13, v16, v13, vcc_lo
	v_and_b32_e32 v16, 7, v13
	v_lshrrev_b32_e32 v13, 2, v13
	s_delay_alu instid0(VALU_DEP_2) | instskip(SKIP_4) | instid1(VALU_DEP_4)
	v_cmp_lt_i32_e32 vcc_lo, 5, v16
	v_cmp_eq_u32_e64 s2, 3, v16
	v_cndmask_b32_e64 v16, 0, 1, s1
	v_cmp_ne_u32_e64 s1, 0, v4
	v_add_nc_u32_e32 v4, 0xfffffc10, v23
	s_or_b32 vcc_lo, s2, vcc_lo
	s_delay_alu instid0(VALU_DEP_3)
	v_or_b32_e32 v16, v24, v16
	s_wait_alu 0xfffe
	v_add_co_ci_u32_e32 v13, vcc_lo, 0, v13, vcc_lo
	v_lshl_or_b32 v18, v4, 12, v20
	v_cmp_gt_i32_e64 s3, 1, v4
	v_cmp_gt_i32_e32 vcc_lo, 31, v11
	v_cmp_ne_u32_e64 s2, 0, v20
	s_wait_alu 0xf1ff
	s_delay_alu instid0(VALU_DEP_3) | instskip(SKIP_4) | instid1(VALU_DEP_3)
	v_cndmask_b32_e64 v16, v18, v16, s3
	v_cndmask_b32_e64 v18, 0, 1, s1
	s_wait_alu 0xfffd
	v_cndmask_b32_e32 v13, 0x7c00, v13, vcc_lo
	v_cmp_eq_u32_e32 vcc_lo, 0x40f, v11
	v_lshl_or_b32 v18, v18, 9, 0x7c00
	s_wait_alu 0xfffd
	s_delay_alu instid0(VALU_DEP_1) | instskip(SKIP_1) | instid1(VALU_DEP_1)
	v_cndmask_b32_e32 v11, v13, v18, vcc_lo
	v_and_b32_e32 v13, 7, v16
	v_cmp_lt_i32_e32 vcc_lo, 5, v13
	v_cmp_eq_u32_e64 s1, 3, v13
	v_lshrrev_b32_e32 v13, 2, v16
	v_cndmask_b32_e64 v16, 0, 1, s2
	s_delay_alu instid0(VALU_DEP_3) | instskip(SKIP_1) | instid1(VALU_DEP_2)
	s_or_b32 vcc_lo, s1, vcc_lo
	s_wait_alu 0xfffe
	v_add_co_ci_u32_e32 v13, vcc_lo, 0, v13, vcc_lo
	v_cmp_gt_i32_e32 vcc_lo, 31, v4
	v_lshl_or_b32 v16, v16, 9, 0x7c00
	s_wait_alu 0xfffd
	s_delay_alu instid0(VALU_DEP_3) | instskip(SKIP_2) | instid1(VALU_DEP_2)
	v_cndmask_b32_e32 v13, 0x7c00, v13, vcc_lo
	v_cmp_eq_u32_e32 vcc_lo, 0x40f, v4
	s_wait_alu 0xfffd
	v_cndmask_b32_e32 v4, v13, v16, vcc_lo
	v_and_or_b32 v16, 0x8000, v12, v11
	v_cvt_f64_f32_e32 v[11:12], v8
	v_lshrrev_b32_e32 v13, 16, v21
	s_delay_alu instid0(VALU_DEP_3) | instskip(NEXT) | instid1(VALU_DEP_2)
	v_and_b32_e32 v8, 0xffff, v16
	v_and_or_b32 v4, 0x8000, v13, v4
	v_fma_f16 v13, v31, v25, -v26
	s_delay_alu instid0(VALU_DEP_2) | instskip(SKIP_2) | instid1(VALU_DEP_1)
	v_lshl_or_b32 v4, v4, 16, v8
	global_store_b32 v[9:10], v4, off
	v_mul_f64_e32 v[11:12], s[10:11], v[11:12]
	v_and_or_b32 v8, 0x1ff, v12, v11
	v_bfe_u32 v16, v12, 20, 11
	v_lshrrev_b32_e32 v4, 8, v12
	s_delay_alu instid0(VALU_DEP_3)
	v_cmp_ne_u32_e32 vcc_lo, 0, v8
	s_wait_alu 0xfffd
	v_cndmask_b32_e64 v11, 0, 1, vcc_lo
	v_add_co_u32 v8, vcc_lo, v9, s14
	s_wait_alu 0xfffd
	v_add_co_ci_u32_e32 v9, vcc_lo, s15, v10, vcc_lo
	v_sub_nc_u32_e32 v10, 0x3f1, v16
	v_and_or_b32 v4, 0xffe, v4, v11
	v_add_nc_u32_e32 v16, 0xfffffc10, v16
	s_delay_alu instid0(VALU_DEP_3) | instskip(NEXT) | instid1(VALU_DEP_3)
	v_med3_i32 v10, v10, 0, 13
	v_or_b32_e32 v11, 0x1000, v4
	s_delay_alu instid0(VALU_DEP_1) | instskip(NEXT) | instid1(VALU_DEP_1)
	v_lshrrev_b32_e32 v18, v10, v11
	v_lshlrev_b32_e32 v10, v10, v18
	s_delay_alu instid0(VALU_DEP_1) | instskip(SKIP_4) | instid1(VALU_DEP_2)
	v_cmp_ne_u32_e32 vcc_lo, v10, v11
	v_lshl_or_b32 v11, v16, 12, v4
	s_wait_alu 0xfffd
	v_cndmask_b32_e64 v10, 0, 1, vcc_lo
	v_cmp_gt_i32_e32 vcc_lo, 1, v16
	v_or_b32_e32 v10, v18, v10
	s_wait_alu 0xfffd
	s_delay_alu instid0(VALU_DEP_1) | instskip(SKIP_4) | instid1(VALU_DEP_1)
	v_cndmask_b32_e32 v20, v11, v10, vcc_lo
	ds_load_2addr_b32 v[10:11], v195 offset0:114 offset1:163
	s_wait_dscnt 0x0
	v_lshrrev_b32_e32 v28, 16, v10
	v_mul_f16_e32 v18, v35, v10
	v_fma_f16 v18, v34, v28, -v18
	s_delay_alu instid0(VALU_DEP_1) | instskip(NEXT) | instid1(VALU_DEP_1)
	v_cvt_f32_f16_e32 v18, v18
	v_cvt_f64_f32_e32 v[18:19], v18
	s_delay_alu instid0(VALU_DEP_1) | instskip(NEXT) | instid1(VALU_DEP_1)
	v_mul_f64_e32 v[26:27], s[10:11], v[18:19]
	v_and_or_b32 v18, 0x1ff, v27, v26
	v_lshrrev_b32_e32 v19, 8, v27
	v_bfe_u32 v31, v27, 20, 11
	s_delay_alu instid0(VALU_DEP_3) | instskip(SKIP_2) | instid1(VALU_DEP_1)
	v_cmp_ne_u32_e32 vcc_lo, 0, v18
	s_wait_alu 0xfffd
	v_cndmask_b32_e64 v18, 0, 1, vcc_lo
	v_and_or_b32 v30, 0xffe, v19, v18
	v_and_b32_e32 v18, 7, v20
	s_delay_alu instid0(VALU_DEP_1) | instskip(SKIP_4) | instid1(VALU_DEP_4)
	v_cmp_lt_i32_e32 vcc_lo, 5, v18
	v_cmp_eq_u32_e64 s1, 3, v18
	v_cndmask_b32_e64 v18, 0, 1, s0
	v_cmp_ne_u32_e64 s0, 0, v4
	v_add_nc_u32_e32 v4, 0xfffffc10, v14
	s_or_b32 vcc_lo, s1, vcc_lo
	s_delay_alu instid0(VALU_DEP_3) | instskip(NEXT) | instid1(VALU_DEP_3)
	v_or_b32_e32 v17, v17, v18
	v_cndmask_b32_e64 v18, 0, 1, s0
	s_delay_alu instid0(VALU_DEP_3) | instskip(SKIP_2) | instid1(VALU_DEP_4)
	v_lshl_or_b32 v14, v4, 12, v6
	v_cmp_gt_i32_e64 s2, 1, v4
	v_cmp_ne_u32_e64 s1, 0, v6
	v_lshl_or_b32 v18, v18, 9, 0x7c00
	s_wait_alu 0xf1ff
	s_delay_alu instid0(VALU_DEP_3) | instskip(SKIP_1) | instid1(VALU_DEP_2)
	v_cndmask_b32_e64 v14, v14, v17, s2
	v_lshrrev_b32_e32 v17, 2, v20
	v_lshrrev_b32_e32 v6, 2, v14
	s_wait_alu 0xfffe
	s_delay_alu instid0(VALU_DEP_2) | instskip(SKIP_2) | instid1(VALU_DEP_2)
	v_add_co_ci_u32_e32 v17, vcc_lo, 0, v17, vcc_lo
	v_cmp_gt_i32_e32 vcc_lo, 31, v16
	s_wait_alu 0xfffd
	v_cndmask_b32_e32 v17, 0x7c00, v17, vcc_lo
	v_cmp_eq_u32_e32 vcc_lo, 0x40f, v16
	s_wait_alu 0xfffd
	s_delay_alu instid0(VALU_DEP_2) | instskip(SKIP_1) | instid1(VALU_DEP_1)
	v_cndmask_b32_e32 v16, v17, v18, vcc_lo
	v_and_b32_e32 v17, 7, v14
	v_cmp_lt_i32_e32 vcc_lo, 5, v17
	v_cmp_eq_u32_e64 s0, 3, v17
	v_lshrrev_b32_e32 v17, 16, v12
	v_cndmask_b32_e64 v12, 0, 1, s1
	s_delay_alu instid0(VALU_DEP_3)
	s_or_b32 vcc_lo, s0, vcc_lo
	s_wait_alu 0xfffe
	v_add_co_ci_u32_e32 v6, vcc_lo, 0, v6, vcc_lo
	v_cmp_gt_i32_e32 vcc_lo, 31, v4
	v_lshl_or_b32 v12, v12, 9, 0x7c00
	s_wait_alu 0xfffd
	s_delay_alu instid0(VALU_DEP_3) | instskip(SKIP_3) | instid1(VALU_DEP_3)
	v_cndmask_b32_e32 v6, 0x7c00, v6, vcc_lo
	v_cmp_eq_u32_e32 vcc_lo, 0x40f, v4
	v_cvt_f32_f16_e32 v4, v13
	s_wait_alu 0xfffd
	v_cndmask_b32_e32 v6, v6, v12, vcc_lo
	s_delay_alu instid0(VALU_DEP_2) | instskip(SKIP_2) | instid1(VALU_DEP_2)
	v_cvt_f64_f32_e32 v[12:13], v4
	v_lshrrev_b32_e32 v4, 16, v15
	v_sub_nc_u32_e32 v15, 0x3f1, v31
	v_and_or_b32 v4, 0x8000, v4, v6
	s_delay_alu instid0(VALU_DEP_2) | instskip(SKIP_2) | instid1(VALU_DEP_1)
	v_med3_i32 v15, v15, 0, 13
	v_mul_f64_e32 v[13:14], s[10:11], v[12:13]
	v_and_or_b32 v12, 0x8000, v17, v16
	v_and_b32_e32 v6, 0xffff, v12
	v_or_b32_e32 v12, 0x1000, v30
	s_delay_alu instid0(VALU_DEP_2) | instskip(NEXT) | instid1(VALU_DEP_2)
	v_lshl_or_b32 v4, v4, 16, v6
	v_lshrrev_b32_e32 v17, v15, v12
	global_store_b32 v[8:9], v4, off
	v_lshlrev_b32_e32 v6, v15, v17
	s_delay_alu instid0(VALU_DEP_1)
	v_cmp_ne_u32_e64 s1, v6, v12
	v_add_co_u32 v12, vcc_lo, v8, s14
	scratch_load_b32 v8, off, off offset:128 th:TH_LOAD_LU ; 4-byte Folded Reload
	v_and_or_b32 v4, 0x1ff, v14, v13
	s_wait_alu 0xfffd
	v_add_co_ci_u32_e32 v13, vcc_lo, s15, v9, vcc_lo
	v_lshrrev_b32_e32 v6, 8, v14
	v_bfe_u32 v24, v14, 20, 11
	v_cmp_ne_u32_e32 vcc_lo, 0, v4
	s_wait_alu 0xfffd
	v_cndmask_b32_e64 v4, 0, 1, vcc_lo
	s_delay_alu instid0(VALU_DEP_1) | instskip(SKIP_2) | instid1(VALU_DEP_3)
	v_and_or_b32 v23, 0xffe, v6, v4
	v_sub_nc_u32_e32 v4, 0x3f1, v24
	v_add_nc_u32_e32 v24, 0xfffffc10, v24
	v_or_b32_e32 v6, 0x1000, v23
	s_delay_alu instid0(VALU_DEP_3) | instskip(NEXT) | instid1(VALU_DEP_1)
	v_med3_i32 v4, v4, 0, 13
	v_lshrrev_b32_e32 v29, v4, v6
	s_delay_alu instid0(VALU_DEP_1) | instskip(NEXT) | instid1(VALU_DEP_1)
	v_lshlrev_b32_e32 v4, v4, v29
	v_cmp_ne_u32_e32 vcc_lo, v4, v6
	scratch_load_b32 v6, off, off offset:132 th:TH_LOAD_LU ; 4-byte Folded Reload
	v_lshrrev_b32_e32 v4, 16, v7
	s_wait_loadcnt 0x0
	s_delay_alu instid0(VALU_DEP_1) | instskip(SKIP_1) | instid1(VALU_DEP_2)
	v_mul_f16_e32 v15, v6, v4
	v_mul_f16_e32 v6, v6, v7
	v_fmac_f16_e32 v15, v8, v7
	s_delay_alu instid0(VALU_DEP_2) | instskip(SKIP_4) | instid1(VALU_DEP_1)
	v_fma_f16 v33, v8, v4, -v6
	ds_load_2addr_b32 v[8:9], v194 offset0:32 offset1:81
	s_wait_dscnt 0x0
	v_lshrrev_b32_e32 v22, 16, v8
	v_mul_f16_e32 v4, v40, v8
	v_fma_f16 v4, v39, v22, -v4
	s_delay_alu instid0(VALU_DEP_1) | instskip(NEXT) | instid1(VALU_DEP_1)
	v_cvt_f32_f16_e32 v4, v4
	v_cvt_f64_f32_e32 v[6:7], v4
	s_delay_alu instid0(VALU_DEP_1) | instskip(NEXT) | instid1(VALU_DEP_1)
	v_mul_f64_e32 v[18:19], s[10:11], v[6:7]
	v_and_or_b32 v4, 0x1ff, v19, v18
	v_lshrrev_b32_e32 v6, 8, v19
	v_bfe_u32 v21, v19, 20, 11
	v_lshrrev_b32_e32 v19, 16, v19
	s_delay_alu instid0(VALU_DEP_4) | instskip(SKIP_1) | instid1(VALU_DEP_1)
	v_cmp_ne_u32_e64 s0, 0, v4
	s_wait_alu 0xf1ff
	v_cndmask_b32_e64 v4, 0, 1, s0
	s_delay_alu instid0(VALU_DEP_1) | instskip(SKIP_2) | instid1(VALU_DEP_3)
	v_and_or_b32 v20, 0xffe, v6, v4
	v_sub_nc_u32_e32 v4, 0x3f1, v21
	v_add_nc_u32_e32 v21, 0xfffffc10, v21
	v_or_b32_e32 v6, 0x1000, v20
	s_delay_alu instid0(VALU_DEP_3) | instskip(NEXT) | instid1(VALU_DEP_1)
	v_med3_i32 v4, v4, 0, 13
	v_lshrrev_b32_e32 v32, v4, v6
	s_delay_alu instid0(VALU_DEP_1) | instskip(NEXT) | instid1(VALU_DEP_1)
	v_lshlrev_b32_e32 v4, v4, v32
	v_cmp_ne_u32_e64 s3, v4, v6
	v_cvt_f32_f16_e32 v4, v15
	s_delay_alu instid0(VALU_DEP_1) | instskip(NEXT) | instid1(VALU_DEP_1)
	v_cvt_f64_f32_e32 v[6:7], v4
	v_mul_f64_e32 v[15:16], s[10:11], v[6:7]
	s_delay_alu instid0(VALU_DEP_1) | instskip(SKIP_2) | instid1(VALU_DEP_3)
	v_and_or_b32 v4, 0x1ff, v16, v15
	v_lshrrev_b32_e32 v6, 8, v16
	v_bfe_u32 v25, v16, 20, 11
	v_cmp_ne_u32_e64 s0, 0, v4
	s_wait_alu 0xf1ff
	s_delay_alu instid0(VALU_DEP_1) | instskip(NEXT) | instid1(VALU_DEP_1)
	v_cndmask_b32_e64 v4, 0, 1, s0
	v_and_or_b32 v4, 0xffe, v6, v4
	v_sub_nc_u32_e32 v6, 0x3f1, v25
	s_delay_alu instid0(VALU_DEP_2) | instskip(NEXT) | instid1(VALU_DEP_2)
	v_or_b32_e32 v7, 0x1000, v4
	v_med3_i32 v6, v6, 0, 13
	s_delay_alu instid0(VALU_DEP_1) | instskip(NEXT) | instid1(VALU_DEP_1)
	v_lshrrev_b32_e32 v26, v6, v7
	v_lshlrev_b32_e32 v6, v6, v26
	s_delay_alu instid0(VALU_DEP_1) | instskip(SKIP_1) | instid1(VALU_DEP_1)
	v_cmp_ne_u32_e64 s0, v6, v7
	v_mul_f16_e32 v6, v35, v28
	v_fmac_f16_e32 v6, v34, v10
	s_delay_alu instid0(VALU_DEP_1) | instskip(NEXT) | instid1(VALU_DEP_1)
	v_cvt_f32_f16_e32 v6, v6
	v_cvt_f64_f32_e32 v[6:7], v6
	s_delay_alu instid0(VALU_DEP_1) | instskip(NEXT) | instid1(VALU_DEP_1)
	v_mul_f64_e32 v[6:7], s[10:11], v[6:7]
	v_and_or_b32 v6, 0x1ff, v7, v6
	v_lshrrev_b32_e32 v10, 8, v7
	s_delay_alu instid0(VALU_DEP_2) | instskip(SKIP_1) | instid1(VALU_DEP_1)
	v_cmp_ne_u32_e64 s2, 0, v6
	s_wait_alu 0xf1ff
	v_cndmask_b32_e64 v6, 0, 1, s2
	s_delay_alu instid0(VALU_DEP_1) | instskip(SKIP_2) | instid1(VALU_DEP_3)
	v_and_or_b32 v6, 0xffe, v10, v6
	v_bfe_u32 v10, v7, 20, 11
	v_lshrrev_b32_e32 v7, 16, v7
	v_or_b32_e32 v18, 0x1000, v6
	s_delay_alu instid0(VALU_DEP_3) | instskip(SKIP_2) | instid1(VALU_DEP_3)
	v_sub_nc_u32_e32 v15, 0x3f1, v10
	v_add_nc_u32_e32 v10, 0xfffffc10, v10
	v_cmp_ne_u32_e64 s5, 0, v6
	v_med3_i32 v15, v15, 0, 13
	s_delay_alu instid0(VALU_DEP_1) | instskip(NEXT) | instid1(VALU_DEP_1)
	v_lshrrev_b32_e32 v28, v15, v18
	v_lshlrev_b32_e32 v15, v15, v28
	s_delay_alu instid0(VALU_DEP_1) | instskip(SKIP_3) | instid1(VALU_DEP_3)
	v_cmp_ne_u32_e64 s2, v15, v18
	v_lshl_or_b32 v18, v10, 12, v6
	v_cndmask_b32_e64 v6, 0, 1, s1
	s_wait_alu 0xf1ff
	v_cndmask_b32_e64 v15, 0, 1, s2
	v_cmp_gt_i32_e64 s2, 1, v10
	s_delay_alu instid0(VALU_DEP_3) | instskip(SKIP_1) | instid1(VALU_DEP_4)
	v_or_b32_e32 v6, v17, v6
	v_add_nc_u32_e32 v17, 0xfffffc10, v31
	v_or_b32_e32 v15, v28, v15
	s_delay_alu instid0(VALU_DEP_2) | instskip(SKIP_1) | instid1(VALU_DEP_2)
	v_cmp_gt_i32_e64 s1, 1, v17
	s_wait_alu 0xf1ff
	v_cndmask_b32_e64 v15, v18, v15, s2
	s_delay_alu instid0(VALU_DEP_1) | instskip(SKIP_1) | instid1(VALU_DEP_2)
	v_and_b32_e32 v18, 7, v15
	v_lshrrev_b32_e32 v15, 2, v15
	v_cmp_lt_i32_e64 s2, 5, v18
	v_cmp_eq_u32_e64 s4, 3, v18
	v_lshl_or_b32 v18, v17, 12, v30
	s_delay_alu instid0(VALU_DEP_1) | instskip(NEXT) | instid1(VALU_DEP_3)
	v_cndmask_b32_e64 v6, v18, v6, s1
	s_or_b32 s1, s4, s2
	v_cndmask_b32_e64 v18, 0, 1, s5
	s_wait_alu 0xfffe
	v_add_co_ci_u32_e64 v15, s1, 0, v15, s1
	v_cmp_gt_i32_e64 s1, 31, v10
	v_cmp_ne_u32_e64 s4, 0, v30
	v_lshl_or_b32 v18, v18, 9, 0x7c00
	s_wait_alu 0xf1ff
	s_delay_alu instid0(VALU_DEP_3) | instskip(SKIP_2) | instid1(VALU_DEP_1)
	v_cndmask_b32_e64 v15, 0x7c00, v15, s1
	v_cmp_eq_u32_e64 s1, 0x40f, v10
	s_wait_alu 0xf1ff
	v_cndmask_b32_e64 v10, v15, v18, s1
	v_and_b32_e32 v15, 7, v6
	v_lshrrev_b32_e32 v6, 2, v6
	s_delay_alu instid0(VALU_DEP_3) | instskip(NEXT) | instid1(VALU_DEP_3)
	v_and_or_b32 v7, 0x8000, v7, v10
	v_cmp_lt_i32_e64 s1, 5, v15
	v_cmp_eq_u32_e64 s2, 3, v15
	v_cndmask_b32_e64 v15, 0, 1, s4
	scratch_load_b32 v10, off, off offset:112 th:TH_LOAD_LU ; 4-byte Folded Reload
	v_and_b32_e32 v7, 0xffff, v7
	s_or_b32 s1, s2, s1
	v_lshl_or_b32 v15, v15, 9, 0x7c00
	s_wait_alu 0xfffe
	v_add_co_ci_u32_e64 v6, s1, 0, v6, s1
	v_cmp_gt_i32_e64 s1, 31, v17
	s_wait_alu 0xf1ff
	s_delay_alu instid0(VALU_DEP_1) | instskip(SKIP_2) | instid1(VALU_DEP_1)
	v_cndmask_b32_e64 v6, 0x7c00, v6, s1
	v_cmp_eq_u32_e64 s1, 0x40f, v17
	s_wait_alu 0xf1ff
	v_cndmask_b32_e64 v6, v6, v15, s1
	v_lshrrev_b32_e32 v15, 16, v27
	v_add_co_u32 v34, s1, v12, s14
	s_wait_alu 0xf1ff
	v_add_co_ci_u32_e64 v35, s1, s15, v13, s1
	s_delay_alu instid0(VALU_DEP_3) | instskip(NEXT) | instid1(VALU_DEP_1)
	v_and_or_b32 v6, 0x8000, v15, v6
	v_lshl_or_b32 v6, v6, 16, v7
	global_store_b32 v[12:13], v6, off
	v_cvt_f32_f16_e32 v6, v33
	s_clause 0x1
	scratch_load_b32 v12, off, off offset:108 th:TH_LOAD_LU
	scratch_load_b32 v13, off, off offset:104 th:TH_LOAD_LU
	v_cvt_f64_f32_e32 v[6:7], v6
	s_delay_alu instid0(VALU_DEP_1) | instskip(NEXT) | instid1(VALU_DEP_1)
	v_mul_f64_e32 v[17:18], s[10:11], v[6:7]
	v_and_or_b32 v6, 0x1ff, v18, v17
	v_lshrrev_b32_e32 v7, 8, v18
	v_bfe_u32 v27, v18, 20, 11
	v_lshrrev_b32_e32 v18, 16, v18
	s_delay_alu instid0(VALU_DEP_4) | instskip(SKIP_1) | instid1(VALU_DEP_1)
	v_cmp_ne_u32_e64 s1, 0, v6
	s_wait_alu 0xf1ff
	v_cndmask_b32_e64 v6, 0, 1, s1
	s_delay_alu instid0(VALU_DEP_1) | instskip(SKIP_1) | instid1(VALU_DEP_2)
	v_and_or_b32 v17, 0xffe, v7, v6
	v_sub_nc_u32_e32 v6, 0x3f1, v27
	v_or_b32_e32 v7, 0x1000, v17
	s_delay_alu instid0(VALU_DEP_2) | instskip(NEXT) | instid1(VALU_DEP_1)
	v_med3_i32 v6, v6, 0, 13
	v_lshrrev_b32_e32 v28, v6, v7
	s_delay_alu instid0(VALU_DEP_1) | instskip(NEXT) | instid1(VALU_DEP_1)
	v_lshlrev_b32_e32 v6, v6, v28
	v_cmp_ne_u32_e64 s1, v6, v7
	scratch_load_b32 v7, off, off offset:116 th:TH_LOAD_LU ; 4-byte Folded Reload
	v_lshrrev_b32_e32 v6, 16, v5
	s_wait_loadcnt 0x0
	s_delay_alu instid0(VALU_DEP_1) | instskip(SKIP_1) | instid1(VALU_DEP_2)
	v_mul_f16_e32 v15, v7, v6
	v_mul_f16_e32 v7, v7, v5
	v_fmac_f16_e32 v15, v10, v5
	s_delay_alu instid0(VALU_DEP_2) | instskip(SKIP_4) | instid1(VALU_DEP_2)
	v_fma_f16 v33, v10, v6, -v7
	ds_load_2addr_b32 v[6:7], v187 offset0:206 offset1:255
	s_wait_dscnt 0x0
	v_lshrrev_b32_e32 v5, 16, v6
	v_mul_f16_e32 v10, v12, v6
	v_mul_f16_e32 v12, v12, v5
	s_delay_alu instid0(VALU_DEP_2) | instskip(NEXT) | instid1(VALU_DEP_2)
	v_fma_f16 v36, v13, v5, -v10
	v_fmac_f16_e32 v12, v13, v6
	s_delay_alu instid0(VALU_DEP_1) | instskip(NEXT) | instid1(VALU_DEP_1)
	v_cvt_f32_f16_e32 v5, v12
	v_cvt_f64_f32_e32 v[5:6], v5
	s_delay_alu instid0(VALU_DEP_1) | instskip(NEXT) | instid1(VALU_DEP_1)
	v_mul_f64_e32 v[12:13], s[10:11], v[5:6]
	v_and_or_b32 v5, 0x1ff, v13, v12
	v_lshrrev_b32_e32 v6, 8, v13
	v_bfe_u32 v30, v13, 20, 11
	s_delay_alu instid0(VALU_DEP_3) | instskip(SKIP_1) | instid1(VALU_DEP_1)
	v_cmp_ne_u32_e64 s2, 0, v5
	s_wait_alu 0xf1ff
	v_cndmask_b32_e64 v5, 0, 1, s2
	s_delay_alu instid0(VALU_DEP_1) | instskip(SKIP_2) | instid1(VALU_DEP_3)
	v_and_or_b32 v10, 0xffe, v6, v5
	v_sub_nc_u32_e32 v5, 0x3f1, v30
	v_add_nc_u32_e32 v30, 0xfffffc10, v30
	v_or_b32_e32 v6, 0x1000, v10
	s_delay_alu instid0(VALU_DEP_3) | instskip(NEXT) | instid1(VALU_DEP_1)
	v_med3_i32 v5, v5, 0, 13
	v_lshrrev_b32_e32 v31, v5, v6
	s_delay_alu instid0(VALU_DEP_1) | instskip(NEXT) | instid1(VALU_DEP_1)
	v_lshlrev_b32_e32 v5, v5, v31
	v_cmp_ne_u32_e64 s2, v5, v6
	v_cvt_f64_f32_e32 v[5:6], v2
	s_delay_alu instid0(VALU_DEP_1) | instskip(NEXT) | instid1(VALU_DEP_1)
	v_mul_f64_e32 v[5:6], s[10:11], v[5:6]
	v_and_or_b32 v2, 0x1ff, v6, v5
	v_lshrrev_b32_e32 v5, 8, v6
	s_delay_alu instid0(VALU_DEP_2) | instskip(SKIP_1) | instid1(VALU_DEP_1)
	v_cmp_ne_u32_e64 s4, 0, v2
	s_wait_alu 0xf1ff
	v_cndmask_b32_e64 v2, 0, 1, s4
	s_delay_alu instid0(VALU_DEP_1) | instskip(SKIP_1) | instid1(VALU_DEP_2)
	v_and_or_b32 v2, 0xffe, v5, v2
	v_bfe_u32 v5, v6, 20, 11
	v_or_b32_e32 v37, 0x1000, v2
	s_delay_alu instid0(VALU_DEP_2) | instskip(SKIP_2) | instid1(VALU_DEP_3)
	v_sub_nc_u32_e32 v12, 0x3f1, v5
	v_add_nc_u32_e32 v5, 0xfffffc10, v5
	v_cmp_ne_u32_e64 s5, 0, v2
	v_med3_i32 v12, v12, 0, 13
	s_delay_alu instid0(VALU_DEP_1) | instskip(NEXT) | instid1(VALU_DEP_1)
	v_lshrrev_b32_e32 v38, v12, v37
	v_lshlrev_b32_e32 v12, v12, v38
	s_delay_alu instid0(VALU_DEP_1) | instskip(SKIP_2) | instid1(VALU_DEP_2)
	v_cmp_ne_u32_e64 s4, v12, v37
	v_lshl_or_b32 v37, v5, 12, v2
	s_wait_alu 0xf1ff
	v_cndmask_b32_e64 v12, 0, 1, s4
	v_cmp_gt_i32_e64 s4, 1, v5
	s_delay_alu instid0(VALU_DEP_2)
	v_or_b32_e32 v12, v38, v12
	scratch_load_b32 v38, off, off offset:84 th:TH_LOAD_LU ; 4-byte Folded Reload
	s_wait_alu 0xf1ff
	v_cndmask_b32_e64 v12, v37, v12, s4
	s_wait_alu 0xfffd
	v_cndmask_b32_e64 v37, 0, 1, vcc_lo
	v_cmp_gt_i32_e32 vcc_lo, 1, v24
	s_delay_alu instid0(VALU_DEP_2) | instskip(SKIP_2) | instid1(VALU_DEP_1)
	v_or_b32_e32 v29, v29, v37
	v_lshl_or_b32 v37, v24, 12, v23
	s_wait_alu 0xfffd
	v_cndmask_b32_e32 v29, v37, v29, vcc_lo
	v_and_b32_e32 v37, 7, v12
	s_delay_alu instid0(VALU_DEP_2) | instskip(NEXT) | instid1(VALU_DEP_2)
	v_and_b32_e32 v2, 7, v29
	v_cmp_lt_i32_e32 vcc_lo, 5, v37
	v_cmp_eq_u32_e64 s4, 3, v37
	scratch_load_b32 v37, off, off offset:80 th:TH_LOAD_LU ; 4-byte Folded Reload
	v_cmp_lt_i32_e64 s6, 5, v2
	v_cmp_eq_u32_e64 s7, 3, v2
	v_lshrrev_b32_e32 v2, 2, v12
	s_or_b32 vcc_lo, s4, vcc_lo
	v_cndmask_b32_e64 v12, 0, 1, s5
	s_delay_alu instid0(VALU_DEP_3)
	s_or_b32 s4, s7, s6
	s_wait_alu 0xfffe
	v_add_co_ci_u32_e32 v2, vcc_lo, 0, v2, vcc_lo
	v_cmp_gt_i32_e32 vcc_lo, 31, v5
	v_lshl_or_b32 v12, v12, 9, 0x7c00
	s_wait_alu 0xfffd
	s_delay_alu instid0(VALU_DEP_3)
	v_cndmask_b32_e32 v2, 0x7c00, v2, vcc_lo
	v_cmp_eq_u32_e32 vcc_lo, 0x40f, v5
	v_lshrrev_b32_e32 v5, 16, v6
	v_lshrrev_b32_e32 v6, 2, v29
	s_wait_alu 0xfffd
	v_cndmask_b32_e32 v2, v2, v12, vcc_lo
	v_cmp_ne_u32_e32 vcc_lo, 0, v23
	s_delay_alu instid0(VALU_DEP_3) | instskip(SKIP_1) | instid1(VALU_DEP_4)
	v_add_co_ci_u32_e64 v6, s4, 0, v6, s4
	v_cmp_gt_i32_e64 s4, 31, v24
	v_and_or_b32 v2, 0x8000, v5, v2
	s_wait_alu 0xfffd
	v_cndmask_b32_e64 v12, 0, 1, vcc_lo
	v_cmp_eq_u32_e32 vcc_lo, 0x40f, v24
	s_wait_alu 0xf1ff
	v_cndmask_b32_e64 v6, 0x7c00, v6, s4
	v_and_b32_e32 v2, 0xffff, v2
	v_lshl_or_b32 v12, v12, 9, 0x7c00
	s_wait_alu 0xfffd
	s_delay_alu instid0(VALU_DEP_1) | instskip(SKIP_1) | instid1(VALU_DEP_1)
	v_cndmask_b32_e32 v6, v6, v12, vcc_lo
	v_lshrrev_b32_e32 v12, 16, v14
	v_and_or_b32 v5, 0x8000, v12, v6
	s_delay_alu instid0(VALU_DEP_1)
	v_lshl_or_b32 v2, v5, 16, v2
	v_add_co_u32 v5, vcc_lo, v34, s14
	s_wait_alu 0xfffd
	v_add_co_ci_u32_e32 v6, vcc_lo, s15, v35, vcc_lo
	global_store_b32 v[34:35], v2, off
	v_cvt_f32_f16_e32 v2, v15
	s_delay_alu instid0(VALU_DEP_1) | instskip(NEXT) | instid1(VALU_DEP_1)
	v_cvt_f64_f32_e32 v[14:15], v2
	v_mul_f64_e32 v[14:15], s[10:11], v[14:15]
	s_delay_alu instid0(VALU_DEP_1) | instskip(SKIP_3) | instid1(VALU_DEP_4)
	v_and_or_b32 v2, 0x1ff, v15, v14
	v_lshrrev_b32_e32 v12, 8, v15
	v_bfe_u32 v23, v15, 20, 11
	v_lshrrev_b32_e32 v15, 16, v15
	v_cmp_ne_u32_e32 vcc_lo, 0, v2
	s_wait_alu 0xfffd
	v_cndmask_b32_e64 v2, 0, 1, vcc_lo
	s_delay_alu instid0(VALU_DEP_1) | instskip(SKIP_1) | instid1(VALU_DEP_2)
	v_and_or_b32 v2, 0xffe, v12, v2
	v_sub_nc_u32_e32 v12, 0x3f1, v23
	v_or_b32_e32 v14, 0x1000, v2
	s_delay_alu instid0(VALU_DEP_2) | instskip(NEXT) | instid1(VALU_DEP_1)
	v_med3_i32 v12, v12, 0, 13
	v_lshrrev_b32_e32 v24, v12, v14
	s_delay_alu instid0(VALU_DEP_1) | instskip(NEXT) | instid1(VALU_DEP_1)
	v_lshlrev_b32_e32 v12, v12, v24
	v_cmp_ne_u32_e32 vcc_lo, v12, v14
	v_mul_f16_e32 v12, v40, v22
	scratch_load_b32 v40, off, off offset:72 th:TH_LOAD_LU ; 4-byte Folded Reload
	v_fmac_f16_e32 v12, v39, v8
	s_delay_alu instid0(VALU_DEP_1) | instskip(NEXT) | instid1(VALU_DEP_1)
	v_cvt_f32_f16_e32 v8, v12
	v_cvt_f64_f32_e32 v[34:35], v8
	s_delay_alu instid0(VALU_DEP_1) | instskip(NEXT) | instid1(VALU_DEP_1)
	v_mul_f64_e32 v[34:35], s[10:11], v[34:35]
	v_and_or_b32 v8, 0x1ff, v35, v34
	v_lshrrev_b32_e32 v12, 8, v35
	scratch_load_b32 v34, off, off offset:88 th:TH_LOAD_LU ; 4-byte Folded Reload
	v_cmp_ne_u32_e64 s4, 0, v8
	s_wait_alu 0xf1ff
	s_delay_alu instid0(VALU_DEP_1) | instskip(NEXT) | instid1(VALU_DEP_1)
	v_cndmask_b32_e64 v8, 0, 1, s4
	v_and_or_b32 v8, 0xffe, v12, v8
	v_bfe_u32 v12, v35, 20, 11
	s_delay_alu instid0(VALU_DEP_2) | instskip(NEXT) | instid1(VALU_DEP_2)
	v_or_b32_e32 v22, 0x1000, v8
	v_sub_nc_u32_e32 v14, 0x3f1, v12
	v_add_nc_u32_e32 v12, 0xfffffc10, v12
	v_cmp_ne_u32_e64 s5, 0, v8
	s_delay_alu instid0(VALU_DEP_3) | instskip(NEXT) | instid1(VALU_DEP_1)
	v_med3_i32 v14, v14, 0, 13
	v_lshrrev_b32_e32 v29, v14, v22
	s_delay_alu instid0(VALU_DEP_1) | instskip(NEXT) | instid1(VALU_DEP_1)
	v_lshlrev_b32_e32 v14, v14, v29
	v_cmp_ne_u32_e64 s4, v14, v22
	v_lshl_or_b32 v22, v12, 12, v8
	s_wait_alu 0xf1ff
	s_delay_alu instid0(VALU_DEP_2) | instskip(SKIP_1) | instid1(VALU_DEP_2)
	v_cndmask_b32_e64 v14, 0, 1, s4
	v_cmp_gt_i32_e64 s4, 1, v12
	v_or_b32_e32 v14, v29, v14
	v_lshl_or_b32 v29, v21, 12, v20
	s_wait_alu 0xf1ff
	s_delay_alu instid0(VALU_DEP_2) | instskip(SKIP_2) | instid1(VALU_DEP_2)
	v_cndmask_b32_e64 v14, v22, v14, s4
	v_cndmask_b32_e64 v22, 0, 1, s3
	v_cmp_gt_i32_e64 s3, 1, v21
	v_or_b32_e32 v22, v32, v22
	s_wait_alu 0xf1ff
	s_delay_alu instid0(VALU_DEP_1) | instskip(SKIP_1) | instid1(VALU_DEP_2)
	v_cndmask_b32_e64 v22, v29, v22, s3
	v_and_b32_e32 v29, 7, v14
	v_and_b32_e32 v8, 7, v22
	s_delay_alu instid0(VALU_DEP_2)
	v_cmp_lt_i32_e64 s3, 5, v29
	v_cmp_eq_u32_e64 s4, 3, v29
	scratch_load_b32 v29, off, off offset:96 th:TH_LOAD_LU ; 4-byte Folded Reload
	v_cmp_lt_i32_e64 s6, 5, v8
	v_cmp_eq_u32_e64 s7, 3, v8
	v_lshrrev_b32_e32 v8, 2, v14
	s_or_b32 s3, s4, s3
	v_cndmask_b32_e64 v14, 0, 1, s5
	s_delay_alu instid0(VALU_DEP_3)
	s_or_b32 s4, s7, s6
	s_wait_alu 0xfffe
	v_add_co_ci_u32_e64 v8, s3, 0, v8, s3
	v_cmp_gt_i32_e64 s3, 31, v12
	v_lshl_or_b32 v14, v14, 9, 0x7c00
	s_wait_alu 0xf1ff
	s_delay_alu instid0(VALU_DEP_2)
	v_cndmask_b32_e64 v8, 0x7c00, v8, s3
	v_cmp_eq_u32_e64 s3, 0x40f, v12
	v_lshrrev_b32_e32 v12, 16, v35
	scratch_load_b32 v35, off, off offset:92 th:TH_LOAD_LU ; 4-byte Folded Reload
	s_wait_alu 0xf1ff
	v_cndmask_b32_e64 v8, v8, v14, s3
	v_lshrrev_b32_e32 v14, 2, v22
	v_cmp_ne_u32_e64 s3, 0, v20
	s_delay_alu instid0(VALU_DEP_3) | instskip(NEXT) | instid1(VALU_DEP_3)
	v_and_or_b32 v8, 0x8000, v12, v8
	v_add_co_ci_u32_e64 v14, s4, 0, v14, s4
	v_cmp_gt_i32_e64 s4, 31, v21
	s_wait_alu 0xf1ff
	v_cndmask_b32_e64 v20, 0, 1, s3
	v_cmp_eq_u32_e64 s3, 0x40f, v21
	v_and_b32_e32 v8, 0xffff, v8
	v_cndmask_b32_e64 v14, 0x7c00, v14, s4
	s_delay_alu instid0(VALU_DEP_4) | instskip(SKIP_1) | instid1(VALU_DEP_1)
	v_lshl_or_b32 v20, v20, 9, 0x7c00
	s_wait_alu 0xf1ff
	v_cndmask_b32_e64 v14, v14, v20, s3
	s_delay_alu instid0(VALU_DEP_1) | instskip(SKIP_3) | instid1(VALU_DEP_3)
	v_and_or_b32 v12, 0x8000, v19, v14
	v_add_co_u32 v19, s3, v5, s14
	s_wait_alu 0xf1ff
	v_add_co_ci_u32_e64 v20, s3, s15, v6, s3
	v_lshl_or_b32 v8, v12, 16, v8
	v_lshrrev_b32_e32 v12, 16, v11
	global_store_b32 v[5:6], v8, off
	scratch_load_b32 v6, off, off offset:100 th:TH_LOAD_LU ; 4-byte Folded Reload
	v_cvt_f32_f16_e32 v5, v36
	s_wait_loadcnt 0x0
	v_mul_f16_e32 v8, v6, v12
	s_delay_alu instid0(VALU_DEP_1) | instskip(SKIP_2) | instid1(VALU_DEP_3)
	v_fmac_f16_e32 v8, v29, v11
	v_mul_f16_e32 v11, v6, v11
	v_cvt_f64_f32_e32 v[5:6], v5
	v_cvt_f32_f16_e32 v8, v8
	s_delay_alu instid0(VALU_DEP_3) | instskip(NEXT) | instid1(VALU_DEP_1)
	v_fma_f16 v29, v29, v12, -v11
	v_cvt_f32_f16_e32 v29, v29
	s_delay_alu instid0(VALU_DEP_4) | instskip(NEXT) | instid1(VALU_DEP_1)
	v_mul_f64_e32 v[21:22], s[10:11], v[5:6]
	v_and_or_b32 v5, 0x1ff, v22, v21
	v_lshrrev_b32_e32 v6, 8, v22
	v_add_nc_u32_e32 v21, 0xfffffc10, v25
	s_delay_alu instid0(VALU_DEP_3) | instskip(SKIP_1) | instid1(VALU_DEP_1)
	v_cmp_ne_u32_e64 s3, 0, v5
	s_wait_alu 0xf1ff
	v_cndmask_b32_e64 v5, 0, 1, s3
	s_delay_alu instid0(VALU_DEP_1) | instskip(SKIP_3) | instid1(VALU_DEP_3)
	v_and_or_b32 v14, 0xffe, v6, v5
	v_cndmask_b32_e64 v5, 0, 1, s0
	v_lshl_or_b32 v6, v21, 12, v4
	v_cmp_gt_i32_e64 s0, 1, v21
	v_or_b32_e32 v5, v26, v5
	v_add_nc_u32_e32 v26, 0xfffffc10, v27
	s_wait_alu 0xf1ff
	s_delay_alu instid0(VALU_DEP_2) | instskip(SKIP_1) | instid1(VALU_DEP_3)
	v_cndmask_b32_e64 v25, v6, v5, s0
	v_cndmask_b32_e64 v5, 0, 1, s1
	v_lshl_or_b32 v6, v26, 12, v17
	v_cmp_gt_i32_e64 s0, 1, v26
	s_delay_alu instid0(VALU_DEP_4) | instskip(NEXT) | instid1(VALU_DEP_4)
	v_and_b32_e32 v11, 7, v25
	v_or_b32_e32 v5, v28, v5
	v_lshrrev_b32_e32 v12, 2, v25
	v_bfe_u32 v28, v22, 20, 11
	v_lshrrev_b32_e32 v22, 16, v22
	v_cmp_eq_u32_e64 s1, 3, v11
	s_wait_alu 0xf1ff
	v_cndmask_b32_e64 v27, v6, v5, s0
	ds_load_2addr_b32 v[5:6], v181 offset0:76 offset1:125
	v_cmp_lt_i32_e64 s0, 5, v11
	v_and_b32_e32 v11, 7, v27
	s_delay_alu instid0(VALU_DEP_2)
	s_or_b32 s0, s1, s0
	v_cmp_gt_i32_e64 s1, 31, v21
	s_wait_alu 0xfffe
	v_add_co_ci_u32_e64 v12, s0, 0, v12, s0
	v_cmp_ne_u32_e64 s0, 0, v4
	v_cmp_lt_i32_e64 s3, 5, v11
	s_wait_alu 0xf1ff
	s_delay_alu instid0(VALU_DEP_2)
	v_cndmask_b32_e64 v4, 0, 1, s0
	v_cmp_eq_u32_e64 s0, 3, v11
	v_cndmask_b32_e64 v11, 0x7c00, v12, s1
	v_cmp_eq_u32_e64 s1, 0x40f, v21
	v_lshrrev_b32_e32 v21, 2, v27
	s_wait_dscnt 0x0
	v_lshrrev_b32_e32 v25, 16, v5
	v_lshl_or_b32 v4, v4, 9, 0x7c00
	s_or_b32 s0, s0, s3
	v_lshrrev_b32_e32 v27, 16, v16
	s_wait_alu 0xfffe
	v_add_co_ci_u32_e64 v21, s0, 0, v21, s0
	v_mul_f16_e32 v12, v35, v25
	v_cndmask_b32_e64 v4, v11, v4, s1
	v_cmp_ne_u32_e64 s0, 0, v17
	s_delay_alu instid0(VALU_DEP_3) | instskip(NEXT) | instid1(VALU_DEP_3)
	v_fmac_f16_e32 v12, v34, v5
	v_and_or_b32 v4, 0x8000, v27, v4
	s_wait_alu 0xf1ff
	s_delay_alu instid0(VALU_DEP_3) | instskip(SKIP_3) | instid1(VALU_DEP_4)
	v_cndmask_b32_e64 v17, 0, 1, s0
	v_cmp_gt_i32_e64 s0, 31, v26
	v_mul_f16_e32 v5, v35, v5
	v_cvt_f32_f16_e32 v12, v12
	v_lshl_or_b32 v17, v17, 9, 0x7c00
	s_wait_alu 0xf1ff
	v_cndmask_b32_e64 v16, 0x7c00, v21, s0
	v_cmp_eq_u32_e64 s0, 0x40f, v26
	v_cvt_f64_f32_e32 v[11:12], v12
	v_sub_nc_u32_e32 v21, 0x3f1, v28
	v_cvt_f32_f16_e32 v26, v33
	v_and_b32_e32 v33, 0xffff, v4
	s_wait_alu 0xf1ff
	v_cndmask_b32_e64 v32, v16, v17, s0
	v_fma_f16 v4, v34, v25, -v5
	v_med3_i32 v21, v21, 0, 13
	v_cvt_f64_f32_e32 v[16:17], v26
	v_or_b32_e32 v26, 0x1000, v14
	v_and_or_b32 v18, 0x8000, v18, v32
	v_cndmask_b32_e64 v32, 0, 1, s2
	v_lshl_or_b32 v25, v30, 12, v10
	s_delay_alu instid0(VALU_DEP_4) | instskip(NEXT) | instid1(VALU_DEP_4)
	v_lshrrev_b32_e32 v27, v21, v26
	v_lshl_or_b32 v18, v18, 16, v33
	s_delay_alu instid0(VALU_DEP_2) | instskip(SKIP_3) | instid1(VALU_DEP_1)
	v_lshlrev_b32_e32 v21, v21, v27
	global_store_b32 v[19:20], v18, off
	v_cmp_ne_u32_e64 s0, v21, v26
	s_wait_alu 0xf1ff
	v_cndmask_b32_e64 v21, 0, 1, s0
	v_mul_f64_e32 v[11:12], s[10:11], v[11:12]
	s_delay_alu instid0(VALU_DEP_1) | instskip(SKIP_3) | instid1(VALU_DEP_4)
	v_and_or_b32 v5, 0x1ff, v12, v11
	v_or_b32_e32 v11, v31, v32
	v_add_nc_u32_e32 v31, 0xfffffc10, v28
	v_lshrrev_b32_e32 v34, 8, v12
	v_cmp_ne_u32_e64 s0, 0, v5
	v_or_b32_e32 v5, v27, v21
	s_delay_alu instid0(VALU_DEP_4)
	v_lshl_or_b32 v21, v31, 12, v14
	v_mul_f64_e32 v[27:28], s[10:11], v[16:17]
	v_cvt_f64_f32_e32 v[16:17], v8
	s_wait_alu 0xf1ff
	v_cndmask_b32_e64 v32, 0, 1, s0
	v_cmp_gt_i32_e64 s0, 1, v30
	s_delay_alu instid0(VALU_DEP_2) | instskip(SKIP_1) | instid1(VALU_DEP_2)
	v_and_or_b32 v32, 0xffe, v34, v32
	s_wait_alu 0xf1ff
	v_cndmask_b32_e64 v11, v25, v11, s0
	v_cmp_gt_i32_e64 s0, 1, v31
	v_cvt_f32_f16_e32 v25, v4
	v_or_b32_e32 v36, 0x1000, v32
	s_delay_alu instid0(VALU_DEP_4)
	v_and_b32_e32 v35, 7, v11
	s_wait_alu 0xf1ff
	v_cndmask_b32_e64 v21, v21, v5, s0
	ds_load_2addr_b32 v[4:5], v161 offset0:122 offset1:171
	v_lshrrev_b32_e32 v11, 2, v11
	v_cvt_f64_f32_e32 v[25:26], v25
	v_cmp_lt_i32_e64 s0, 5, v35
	v_cmp_eq_u32_e64 s1, 3, v35
	v_and_b32_e32 v33, 7, v21
	v_lshrrev_b32_e32 v21, 2, v21
	v_bfe_u32 v35, v12, 20, 11
	v_lshrrev_b32_e32 v12, 16, v12
	s_or_b32 s0, s1, s0
	v_cmp_lt_i32_e64 s2, 5, v33
	v_cmp_eq_u32_e64 s3, 3, v33
	s_wait_alu 0xfffe
	v_add_co_ci_u32_e64 v33, s0, 0, v11, s0
	v_cmp_ne_u32_e64 s0, 0, v10
	v_cvt_f64_f32_e32 v[10:11], v29
	s_wait_alu 0xf1ff
	s_delay_alu instid0(VALU_DEP_2)
	v_cndmask_b32_e64 v8, 0, 1, s0
	s_wait_dscnt 0x0
	v_lshrrev_b32_e32 v34, 16, v4
	v_cmp_gt_i32_e64 s0, 31, v30
	v_and_or_b32 v27, 0x1ff, v28, v27
	v_lshl_or_b32 v8, v8, 9, 0x7c00
	s_wait_alu 0xf1ff
	s_delay_alu instid0(VALU_DEP_3) | instskip(SKIP_4) | instid1(VALU_DEP_3)
	v_cndmask_b32_e64 v29, 0x7c00, v33, s0
	v_cmp_eq_u32_e64 s0, 0x40f, v30
	v_mul_f16_e32 v30, v38, v34
	v_lshrrev_b32_e32 v33, 16, v13
	s_wait_alu 0xf1ff
	v_cndmask_b32_e64 v8, v29, v8, s0
	s_delay_alu instid0(VALU_DEP_3)
	v_fmac_f16_e32 v30, v37, v4
	s_or_b32 s0, s3, s2
	v_mul_f16_e32 v4, v38, v4
	s_wait_alu 0xfffe
	v_add_co_ci_u32_e64 v21, s0, 0, v21, s0
	v_cvt_f32_f16_e32 v13, v30
	v_cmp_ne_u32_e64 s0, 0, v14
	v_and_or_b32 v8, 0x8000, v33, v8
	v_mul_f64_e32 v[25:26], s[10:11], v[25:26]
	v_lshrrev_b32_e32 v33, 16, v9
	v_cvt_f64_f32_e32 v[29:30], v13
	s_wait_alu 0xf1ff
	v_cndmask_b32_e64 v14, 0, 1, s0
	v_cmp_gt_i32_e64 s0, 31, v31
	v_and_b32_e32 v8, 0xffff, v8
	s_delay_alu instid0(VALU_DEP_3) | instskip(SKIP_1) | instid1(VALU_DEP_3)
	v_lshl_or_b32 v14, v14, 9, 0x7c00
	s_wait_alu 0xf1ff
	v_cndmask_b32_e64 v13, 0x7c00, v21, s0
	v_cmp_eq_u32_e64 s0, 0x40f, v31
	v_sub_nc_u32_e32 v21, 0x3f1, v35
	s_wait_alu 0xf1ff
	s_delay_alu instid0(VALU_DEP_2)
	v_cndmask_b32_e64 v31, v13, v14, s0
	v_cmp_ne_u32_e64 s0, 0, v27
	v_mul_f64_e32 v[13:14], s[10:11], v[16:17]
	v_mul_f64_e32 v[16:17], s[10:11], v[10:11]
	v_med3_i32 v21, v21, 0, 13
	v_and_or_b32 v11, 0x8000, v22, v31
	s_wait_alu 0xf1ff
	v_cndmask_b32_e64 v10, 0, 1, s0
	v_add_co_u32 v18, s0, v19, s14
	s_wait_alu 0xf1ff
	v_add_co_ci_u32_e64 v19, s0, s15, v20, s0
	v_lshrrev_b32_e32 v20, 8, v28
	v_lshl_or_b32 v8, v11, 16, v8
	v_lshrrev_b32_e32 v27, v21, v36
	v_bfe_u32 v22, v28, 20, 11
	v_lshrrev_b32_e32 v28, 16, v28
	v_and_or_b32 v20, 0xffe, v20, v10
	global_store_b32 v[18:19], v8, off
	v_lshlrev_b32_e32 v21, v21, v27
	v_add_co_u32 v18, s1, v18, s8
	s_wait_alu 0xf1ff
	v_add_co_ci_u32_e64 v19, s1, s9, v19, s1
	s_delay_alu instid0(VALU_DEP_3)
	v_cmp_ne_u32_e64 s0, v21, v36
	v_and_or_b32 v8, 0x1ff, v26, v25
	v_mul_f64_e32 v[10:11], s[10:11], v[29:30]
	scratch_load_b32 v30, off, off offset:76 th:TH_LOAD_LU ; 4-byte Folded Reload
	v_sub_nc_u32_e32 v31, 0x3f1, v22
	v_lshrrev_b32_e32 v25, 8, v26
	v_cmp_ne_u32_e64 s1, 0, v8
	v_add_nc_u32_e32 v22, 0xfffffc10, v22
	s_delay_alu instid0(VALU_DEP_4) | instskip(SKIP_3) | instid1(VALU_DEP_1)
	v_med3_i32 v29, v31, 0, 13
	v_or_b32_e32 v31, 0x1000, v20
	s_wait_alu 0xf1ff
	v_cndmask_b32_e64 v8, 0, 1, s1
	v_and_or_b32 v36, 0xffe, v25, v8
	v_and_or_b32 v8, 0x1ff, v17, v16
	v_fma_f16 v16, v37, v34, -v4
	v_lshrrev_b32_e32 v4, 8, v14
	v_bfe_u32 v37, v17, 20, 11
	v_and_or_b32 v10, 0x1ff, v11, v10
	s_wait_loadcnt 0x0
	v_mul_f16_e32 v21, v30, v33
	v_mul_f16_e32 v30, v30, v9
	s_delay_alu instid0(VALU_DEP_2) | instskip(SKIP_2) | instid1(VALU_DEP_3)
	v_fmac_f16_e32 v21, v40, v9
	v_and_or_b32 v9, 0x1ff, v14, v13
	v_lshrrev_b32_e32 v13, 8, v17
	v_cvt_f32_f16_e32 v21, v21
	s_delay_alu instid0(VALU_DEP_3) | instskip(SKIP_1) | instid1(VALU_DEP_1)
	v_cmp_ne_u32_e64 s1, 0, v9
	s_wait_alu 0xf1ff
	v_cndmask_b32_e64 v9, 0, 1, s1
	v_cmp_ne_u32_e64 s1, 0, v8
	s_delay_alu instid0(VALU_DEP_2) | instskip(SKIP_2) | instid1(VALU_DEP_3)
	v_and_or_b32 v25, 0xffe, v4, v9
	v_lshrrev_b32_e32 v4, v29, v31
	s_wait_alu 0xf1ff
	v_cndmask_b32_e64 v8, 0, 1, s1
	v_add_nc_u32_e32 v9, 0xfffffc10, v23
	s_delay_alu instid0(VALU_DEP_3) | instskip(NEXT) | instid1(VALU_DEP_3)
	v_lshlrev_b32_e32 v23, v29, v4
	v_and_or_b32 v13, 0xffe, v13, v8
	s_wait_alu 0xfffd
	v_cndmask_b32_e64 v8, 0, 1, vcc_lo
	s_delay_alu instid0(VALU_DEP_3) | instskip(SKIP_1) | instid1(VALU_DEP_3)
	v_cmp_ne_u32_e32 vcc_lo, v23, v31
	v_add_nc_u32_e32 v31, 0xfffffc10, v35
	v_or_b32_e32 v8, v24, v8
	v_lshl_or_b32 v24, v9, 12, v2
	v_or_b32_e32 v35, 0x1000, v25
	s_wait_alu 0xfffd
	v_cndmask_b32_e64 v23, 0, 1, vcc_lo
	v_cmp_gt_i32_e32 vcc_lo, 1, v9
	s_delay_alu instid0(VALU_DEP_2)
	v_or_b32_e32 v4, v4, v23
	s_wait_alu 0xfffd
	v_cndmask_b32_e32 v8, v24, v8, vcc_lo
	v_cmp_ne_u32_e32 vcc_lo, 0, v10
	v_lshl_or_b32 v23, v22, 12, v20
	v_lshrrev_b32_e32 v24, 8, v11
	s_delay_alu instid0(VALU_DEP_4)
	v_and_b32_e32 v29, 7, v8
	s_wait_alu 0xfffd
	v_cndmask_b32_e64 v10, 0, 1, vcc_lo
	v_cmp_gt_i32_e32 vcc_lo, 1, v22
	v_lshrrev_b32_e32 v8, 2, v8
	v_cmp_eq_u32_e64 s1, 3, v29
	s_wait_alu 0xfffd
	v_cndmask_b32_e32 v23, v23, v4, vcc_lo
	v_cmp_lt_i32_e32 vcc_lo, 5, v29
	v_and_or_b32 v4, 0xffe, v24, v10
	v_bfe_u32 v24, v26, 20, 11
	v_or_b32_e32 v29, 0x1000, v36
	v_and_b32_e32 v10, 7, v23
	s_or_b32 vcc_lo, s1, vcc_lo
	s_wait_alu 0xfffe
	v_add_co_ci_u32_e32 v8, vcc_lo, 0, v8, vcc_lo
	v_cmp_ne_u32_e32 vcc_lo, 0, v2
	v_cmp_lt_i32_e64 s2, 5, v10
	v_cmp_eq_u32_e64 s3, 3, v10
	v_sub_nc_u32_e32 v10, 0x3f1, v24
	v_add_nc_u32_e32 v24, 0xfffffc10, v24
	s_wait_alu 0xfffd
	v_cndmask_b32_e64 v2, 0, 1, vcc_lo
	v_cmp_gt_i32_e32 vcc_lo, 31, v9
	v_med3_i32 v10, v10, 0, 13
	v_cmp_gt_i32_e64 s1, 1, v24
	s_delay_alu instid0(VALU_DEP_4)
	v_lshl_or_b32 v2, v2, 9, 0x7c00
	s_wait_alu 0xfffd
	v_cndmask_b32_e32 v8, 0x7c00, v8, vcc_lo
	v_cmp_eq_u32_e32 vcc_lo, 0x40f, v9
	v_lshrrev_b32_e32 v9, 2, v23
	v_lshrrev_b32_e32 v23, v10, v29
	s_wait_alu 0xfffd
	v_cndmask_b32_e32 v2, v8, v2, vcc_lo
	s_or_b32 vcc_lo, s3, s2
	s_delay_alu instid0(VALU_DEP_2)
	v_lshlrev_b32_e32 v10, v10, v23
	s_wait_alu 0xfffe
	v_add_co_ci_u32_e32 v8, vcc_lo, 0, v9, vcc_lo
	v_cmp_ne_u32_e32 vcc_lo, 0, v20
	v_bfe_u32 v20, v14, 20, 11
	v_and_or_b32 v2, 0x8000, v15, v2
	v_lshl_or_b32 v15, v24, 12, v36
	v_lshrrev_b32_e32 v14, 16, v14
	s_wait_alu 0xfffd
	v_cndmask_b32_e64 v9, 0, 1, vcc_lo
	v_cmp_gt_i32_e32 vcc_lo, 31, v22
	v_and_b32_e32 v2, 0xffff, v2
	s_delay_alu instid0(VALU_DEP_3)
	v_lshl_or_b32 v9, v9, 9, 0x7c00
	s_wait_alu 0xfffd
	v_cndmask_b32_e32 v8, 0x7c00, v8, vcc_lo
	v_cmp_eq_u32_e32 vcc_lo, 0x40f, v22
	v_cndmask_b32_e64 v22, 0, 1, s0
	s_wait_alu 0xfffd
	s_delay_alu instid0(VALU_DEP_3) | instskip(SKIP_1) | instid1(VALU_DEP_3)
	v_cndmask_b32_e32 v34, v8, v9, vcc_lo
	v_cvt_f32_f16_e32 v8, v16
	v_or_b32_e32 v22, v27, v22
	v_lshl_or_b32 v27, v31, 12, v32
	v_cmp_gt_i32_e32 vcc_lo, 1, v31
	v_sub_nc_u32_e32 v16, 0x3f1, v20
	v_cvt_f64_f32_e32 v[8:9], v8
	s_wait_alu 0xfffd
	v_cndmask_b32_e32 v22, v27, v22, vcc_lo
	v_cmp_ne_u32_e32 vcc_lo, v10, v29
	v_med3_i32 v16, v16, 0, 13
	v_and_or_b32 v29, 0x8000, v28, v34
	v_or_b32_e32 v28, 0x1000, v4
	v_and_b32_e32 v27, 7, v22
	s_wait_alu 0xfffd
	v_cndmask_b32_e64 v10, 0, 1, vcc_lo
	v_lshrrev_b32_e32 v38, v16, v35
	v_lshl_or_b32 v2, v29, 16, v2
	v_cmp_lt_i32_e32 vcc_lo, 5, v27
	s_delay_alu instid0(VALU_DEP_4) | instskip(SKIP_2) | instid1(VALU_DEP_3)
	v_or_b32_e32 v10, v23, v10
	v_cmp_eq_u32_e64 s0, 3, v27
	v_lshlrev_b32_e32 v39, v16, v38
	v_cndmask_b32_e64 v10, v15, v10, s1
	v_sub_nc_u32_e32 v15, 0x3f1, v37
	s_delay_alu instid0(VALU_DEP_4) | instskip(SKIP_1) | instid1(VALU_DEP_3)
	s_or_b32 vcc_lo, s0, vcc_lo
	v_cmp_gt_i32_e64 s1, 31, v31
	v_and_b32_e32 v16, 7, v10
	s_delay_alu instid0(VALU_DEP_3) | instskip(SKIP_1) | instid1(VALU_DEP_3)
	v_med3_i32 v23, v15, 0, 13
	v_lshrrev_b32_e32 v15, 2, v22
	v_cmp_eq_u32_e64 s0, 3, v16
	s_wait_alu 0xfffe
	s_delay_alu instid0(VALU_DEP_2) | instskip(SKIP_3) | instid1(VALU_DEP_3)
	v_add_co_ci_u32_e32 v15, vcc_lo, 0, v15, vcc_lo
	v_cmp_ne_u32_e32 vcc_lo, 0, v32
	v_or_b32_e32 v32, 0x1000, v13
	s_wait_alu 0xf1ff
	v_cndmask_b32_e64 v27, 0x7c00, v15, s1
	v_cmp_eq_u32_e64 s1, 0x40f, v31
	s_wait_alu 0xfffd
	v_cndmask_b32_e64 v22, 0, 1, vcc_lo
	v_cmp_lt_i32_e32 vcc_lo, 5, v16
	v_mul_f64_e32 v[15:16], s[10:11], v[8:9]
	v_lshrrev_b32_e32 v8, 2, v10
	v_lshrrev_b32_e32 v31, v23, v32
	v_lshl_or_b32 v22, v22, 9, 0x7c00
	s_or_b32 vcc_lo, s0, vcc_lo
	v_bfe_u32 v10, v11, 20, 11
	s_wait_alu 0xfffe
	v_add_co_ci_u32_e32 v8, vcc_lo, 0, v8, vcc_lo
	v_cmp_ne_u32_e32 vcc_lo, 0, v36
	v_cndmask_b32_e64 v9, v27, v22, s1
	v_lshlrev_b32_e32 v36, v23, v31
	v_lshrrev_b32_e32 v23, 16, v26
	v_sub_nc_u32_e32 v27, 0x3f1, v10
	s_wait_alu 0xfffd
	v_cndmask_b32_e64 v22, 0, 1, vcc_lo
	v_cmp_gt_i32_e32 vcc_lo, 31, v24
	v_and_or_b32 v9, 0x8000, v12, v9
	v_fma_f16 v12, v40, v33, -v30
	v_med3_i32 v34, v27, 0, 13
	v_lshl_or_b32 v22, v22, 9, 0x7c00
	s_wait_alu 0xfffd
	v_cndmask_b32_e32 v8, 0x7c00, v8, vcc_lo
	v_cmp_eq_u32_e32 vcc_lo, 0x40f, v24
	v_and_b32_e32 v29, 0xffff, v9
	v_cvt_f32_f16_e32 v12, v12
	v_lshrrev_b32_e32 v27, v34, v28
	v_add_nc_u32_e32 v10, 0xfffffc10, v10
	s_wait_alu 0xfffd
	v_cndmask_b32_e32 v8, v8, v22, vcc_lo
	v_cvt_f64_f32_e32 v[21:22], v21
	v_lshlrev_b32_e32 v33, v34, v27
	s_delay_alu instid0(VALU_DEP_3) | instskip(SKIP_3) | instid1(VALU_DEP_3)
	v_and_or_b32 v26, 0x8000, v23, v8
	v_add_co_u32 v23, vcc_lo, v18, s14
	s_wait_alu 0xfffd
	v_add_co_ci_u32_e32 v24, vcc_lo, s15, v19, vcc_lo
	v_lshl_or_b32 v26, v26, 16, v29
	ds_load_2addr_b32 v[8:9], v169 offset0:168 offset1:217
	global_store_b32 v[18:19], v2, off
	global_store_b32 v[23:24], v26, off
	v_and_or_b32 v15, 0x1ff, v16, v15
	s_clause 0x2
	scratch_load_b32 v44, off, off offset:60 th:TH_LOAD_LU
	scratch_load_b32 v43, off, off offset:56 th:TH_LOAD_LU
	;; [unrolled: 1-line block ×3, first 2 shown]
	v_cvt_f64_f32_e32 v[29:30], v12
	v_cmp_ne_u32_e32 vcc_lo, 0, v15
	v_lshrrev_b32_e32 v12, 8, v16
	v_bfe_u32 v34, v16, 20, 11
	v_lshrrev_b32_e32 v16, 16, v16
	s_wait_alu 0xfffd
	v_cndmask_b32_e64 v2, 0, 1, vcc_lo
	v_add_co_u32 v23, vcc_lo, v23, s14
	s_wait_alu 0xfffd
	v_add_co_ci_u32_e32 v24, vcc_lo, s15, v24, vcc_lo
	v_cmp_ne_u32_e32 vcc_lo, v39, v35
	scratch_load_b32 v39, off, off offset:68 th:TH_LOAD_LU ; 4-byte Folded Reload
	s_wait_dscnt 0x0
	v_lshrrev_b32_e32 v15, 16, v8
	v_add_nc_u32_e32 v35, 0xfffffc10, v20
	v_and_or_b32 v2, 0xffe, v12, v2
	s_wait_alu 0xfffd
	v_cndmask_b32_e64 v18, 0, 1, vcc_lo
	v_cmp_ne_u32_e32 vcc_lo, v36, v32
	v_add_nc_u32_e32 v36, 0xfffffc10, v37
	v_sub_nc_u32_e32 v12, 0x3f1, v34
	v_mul_f64_e32 v[19:20], s[10:11], v[21:22]
	v_or_b32_e32 v18, v38, v18
	scratch_load_b32 v38, off, off offset:64 th:TH_LOAD_LU ; 4-byte Folded Reload
	v_lshl_or_b32 v21, v35, 12, v25
	s_wait_alu 0xfffd
	v_cndmask_b32_e64 v22, 0, 1, vcc_lo
	v_cmp_gt_i32_e32 vcc_lo, 1, v35
	v_med3_i32 v12, v12, 0, 13
	v_or_b32_e32 v37, 0x1000, v2
	v_add_nc_u32_e32 v34, 0xfffffc10, v34
	s_wait_alu 0xfffd
	v_cndmask_b32_e32 v18, v21, v18, vcc_lo
	v_or_b32_e32 v21, v31, v22
	v_lshl_or_b32 v22, v36, 12, v13
	v_cmp_gt_i32_e32 vcc_lo, 1, v36
	v_lshrrev_b32_e32 v40, v12, v37
	s_wait_loadcnt 0x1
	v_mul_f16_e32 v26, v39, v15
	s_wait_loadcnt 0x0
	s_delay_alu instid0(VALU_DEP_1) | instskip(SKIP_1) | instid1(VALU_DEP_2)
	v_fmac_f16_e32 v26, v38, v8
	v_mul_f16_e32 v8, v39, v8
	v_cvt_f32_f16_e32 v26, v26
	s_delay_alu instid0(VALU_DEP_2) | instskip(SKIP_2) | instid1(VALU_DEP_4)
	v_fma_f16 v8, v38, v15, -v8
	v_and_b32_e32 v15, 7, v18
	v_lshrrev_b32_e32 v38, 16, v7
	v_cvt_f64_f32_e32 v[31:32], v26
	s_wait_alu 0xfffd
	v_cndmask_b32_e32 v26, v22, v21, vcc_lo
	v_cmp_lt_i32_e32 vcc_lo, 5, v15
	v_cmp_eq_u32_e64 s0, 3, v15
	v_cvt_f32_f16_e32 v8, v8
	v_lshrrev_b32_e32 v15, 2, v18
	v_mul_f64_e32 v[21:22], s[10:11], v[29:30]
	v_and_b32_e32 v39, 7, v26
	s_or_b32 vcc_lo, s0, vcc_lo
	v_cvt_f64_f32_e32 v[29:30], v8
	s_wait_alu 0xfffe
	v_add_co_ci_u32_e32 v15, vcc_lo, 0, v15, vcc_lo
	v_mul_f16_e32 v8, v44, v38
	v_cmp_ne_u32_e32 vcc_lo, 0, v25
	v_cmp_lt_i32_e64 s1, 5, v39
	v_cmp_eq_u32_e64 s2, 3, v39
	v_and_or_b32 v39, 0x1ff, v20, v19
	v_fmac_f16_e32 v8, v43, v7
	s_wait_alu 0xfffd
	v_cndmask_b32_e64 v18, 0, 1, vcc_lo
	v_cmp_gt_i32_e32 vcc_lo, 31, v35
	s_or_b32 s0, s2, s1
	v_mul_f16_e32 v7, v44, v7
	v_cvt_f32_f16_e32 v8, v8
	v_lshl_or_b32 v41, v18, 9, 0x7c00
	v_lshrrev_b32_e32 v18, 2, v26
	s_wait_alu 0xfffd
	v_cndmask_b32_e32 v15, 0x7c00, v15, vcc_lo
	v_cmp_eq_u32_e32 vcc_lo, 0x40f, v35
	v_cvt_f64_f32_e32 v[25:26], v8
	v_fma_f16 v7, v43, v38, -v7
	s_wait_alu 0xfffe
	v_add_co_ci_u32_e64 v8, s0, 0, v18, s0
	v_cmp_ne_u32_e64 s0, 0, v13
	s_wait_alu 0xfffd
	v_cndmask_b32_e32 v15, v15, v41, vcc_lo
	v_cmp_eq_u32_e32 vcc_lo, 0x40f, v36
	v_lshrrev_b32_e32 v43, 16, v11
	s_wait_alu 0xf1ff
	v_cndmask_b32_e64 v13, 0, 1, s0
	v_cmp_ne_u32_e64 s0, 0, v39
	v_mul_f64_e32 v[18:19], s[10:11], v[31:32]
	v_lshlrev_b32_e32 v39, v12, v40
	v_bfe_u32 v32, v20, 20, 11
	v_lshl_or_b32 v13, v13, 9, 0x7c00
	s_wait_alu 0xf1ff
	v_cndmask_b32_e64 v31, 0, 1, s0
	v_cmp_gt_i32_e64 s0, 31, v36
	v_and_or_b32 v21, 0x1ff, v22, v21
	v_sub_nc_u32_e32 v35, 0x3f1, v32
	v_add_nc_u32_e32 v32, 0xfffffc10, v32
	s_wait_alu 0xf1ff
	v_cndmask_b32_e64 v8, 0x7c00, v8, s0
	v_cmp_ne_u32_e64 s0, v33, v28
	v_lshrrev_b32_e32 v28, 16, v3
	v_med3_i32 v35, v35, 0, 13
	s_wait_alu 0xfffd
	v_cndmask_b32_e32 v8, v8, v13, vcc_lo
	v_lshrrev_b32_e32 v13, 16, v17
	v_and_or_b32 v17, 0x8000, v14, v15
	v_mul_f64_e32 v[14:15], s[10:11], v[29:30]
	v_cmp_ne_u32_e32 vcc_lo, 0, v21
	v_bfe_u32 v29, v22, 20, 11
	v_lshrrev_b32_e32 v30, 8, v22
	v_and_or_b32 v8, 0x8000, v13, v8
	v_and_b32_e32 v13, 0xffff, v17
	s_wait_alu 0xfffd
	v_cndmask_b32_e64 v21, 0, 1, vcc_lo
	v_sub_nc_u32_e32 v17, 0x3f1, v29
	v_add_nc_u32_e32 v29, 0xfffffc10, v29
	v_lshrrev_b32_e32 v22, 16, v22
	v_lshl_or_b32 v8, v8, 16, v13
	v_and_or_b32 v30, 0xffe, v30, v21
	v_med3_i32 v17, v17, 0, 13
	v_lshrrev_b32_e32 v21, 8, v20
	v_mul_f64_e32 v[12:13], s[10:11], v[25:26]
	global_store_b32 v[23:24], v8, off
	v_or_b32_e32 v36, 0x1000, v30
	v_add_co_u32 v23, vcc_lo, v23, s14
	s_wait_alu 0xfffd
	v_add_co_ci_u32_e32 v24, vcc_lo, s15, v24, vcc_lo
	v_and_or_b32 v8, 0x1ff, v19, v18
	v_lshrrev_b32_e32 v41, v17, v36
	v_lshrrev_b32_e32 v18, 8, v19
	v_bfe_u32 v26, v19, 20, 11
	v_and_or_b32 v31, 0xffe, v21, v31
	v_cmp_ne_u32_e32 vcc_lo, 0, v8
	v_lshlrev_b32_e32 v17, v17, v41
	v_lshrrev_b32_e32 v20, 16, v20
	v_sub_nc_u32_e32 v21, 0x3f1, v26
	v_or_b32_e32 v42, 0x1000, v31
	s_wait_alu 0xfffd
	v_cndmask_b32_e64 v8, 0, 1, vcc_lo
	v_cmp_ne_u32_e32 vcc_lo, v17, v36
	v_lshrrev_b32_e32 v19, 16, v19
	v_med3_i32 v25, v21, 0, 13
	v_lshrrev_b32_e32 v36, v35, v42
	v_and_or_b32 v17, 0xffe, v18, v8
	v_and_or_b32 v8, 0x1ff, v15, v14
	s_wait_alu 0xf1ff
	v_cndmask_b32_e64 v14, 0, 1, s0
	v_lshrrev_b32_e32 v18, 8, v15
	v_or_b32_e32 v33, 0x1000, v17
	v_lshlrev_b32_e32 v35, v35, v36
	v_cmp_ne_u32_e64 s0, 0, v8
	v_or_b32_e32 v21, v27, v14
	v_lshl_or_b32 v27, v10, 12, v4
	s_wait_alu 0xf1ff
	s_delay_alu instid0(VALU_DEP_3) | instskip(SKIP_2) | instid1(VALU_DEP_3)
	v_cndmask_b32_e64 v8, 0, 1, s0
	v_cmp_gt_i32_e64 s0, 1, v10
	v_and_or_b32 v12, 0x1ff, v13, v12
	v_and_or_b32 v14, 0xffe, v18, v8
	scratch_load_b32 v18, off, off offset:52 th:TH_LOAD_LU ; 4-byte Folded Reload
	s_wait_alu 0xf1ff
	v_cndmask_b32_e64 v8, v27, v21, s0
	v_cmp_ne_u32_e64 s0, v39, v37
	v_cmp_ne_u32_e64 s2, 0, v12
	v_lshl_or_b32 v39, v34, 12, v2
	v_lshrrev_b32_e32 v21, v25, v33
	s_wait_alu 0xf1ff
	v_cndmask_b32_e64 v37, 0, 1, s0
	v_cndmask_b32_e64 v12, 0, 1, s2
	v_cmp_gt_i32_e64 s2, 1, v34
	s_delay_alu instid0(VALU_DEP_3) | instskip(SKIP_1) | instid1(VALU_DEP_1)
	v_or_b32_e32 v37, v40, v37
	s_wait_alu 0xf1ff
	v_cndmask_b32_e64 v37, v39, v37, s2
	v_lshrrev_b32_e32 v39, 8, v13
	v_cmp_ne_u32_e64 s2, v35, v42
	s_wait_alu 0xf1ff
	s_delay_alu instid0(VALU_DEP_1) | instskip(NEXT) | instid1(VALU_DEP_1)
	v_cndmask_b32_e64 v35, 0, 1, s2
	v_or_b32_e32 v35, v36, v35
	v_lshl_or_b32 v36, v32, 12, v31
	s_wait_loadcnt 0x0
	v_mul_f16_e32 v38, v18, v28
	v_mul_f16_e32 v27, v18, v3
	v_bfe_u32 v18, v15, 20, 11
	v_lshrrev_b32_e32 v15, 16, v15
	s_delay_alu instid0(VALU_DEP_4) | instskip(SKIP_2) | instid1(VALU_DEP_3)
	v_fmac_f16_e32 v38, v45, v3
	v_and_b32_e32 v3, 7, v8
	v_lshrrev_b32_e32 v8, 2, v8
	v_cvt_f32_f16_e32 v38, v38
	s_delay_alu instid0(VALU_DEP_3) | instskip(SKIP_3) | instid1(VALU_DEP_3)
	v_cmp_lt_i32_e64 s0, 5, v3
	v_cmp_eq_u32_e64 s1, 3, v3
	v_sub_nc_u32_e32 v3, 0x3f1, v18
	v_add_nc_u32_e32 v18, 0xfffffc10, v18
	s_or_b32 s0, s1, s0
	s_delay_alu instid0(VALU_DEP_2) | instskip(SKIP_4) | instid1(VALU_DEP_1)
	v_med3_i32 v3, v3, 0, 13
	s_wait_alu 0xfffe
	v_add_co_ci_u32_e64 v8, s0, 0, v8, s0
	v_cmp_ne_u32_e64 s0, 0, v4
	s_wait_alu 0xf1ff
	v_cndmask_b32_e64 v4, 0, 1, s0
	v_cmp_gt_i32_e64 s0, 31, v10
	s_delay_alu instid0(VALU_DEP_2)
	v_lshl_or_b32 v40, v4, 9, 0x7c00
	v_and_or_b32 v4, 0xffe, v39, v12
	v_or_b32_e32 v12, 0x1000, v14
	s_wait_alu 0xf1ff
	v_cndmask_b32_e64 v8, 0x7c00, v8, s0
	v_cmp_eq_u32_e64 s0, 0x40f, v10
	v_and_b32_e32 v39, 7, v37
	v_bfe_u32 v10, v13, 20, 11
	v_lshrrev_b32_e32 v11, v3, v12
	v_lshrrev_b32_e32 v37, 2, v37
	s_wait_alu 0xf1ff
	v_cndmask_b32_e64 v40, v8, v40, s0
	v_cmp_lt_i32_e64 s0, 5, v39
	v_cmp_eq_u32_e64 s1, 3, v39
	v_sub_nc_u32_e32 v8, 0x3f1, v10
	v_lshlrev_b32_e32 v39, v25, v21
	v_lshlrev_b32_e32 v25, v3, v11
	v_cvt_f32_f16_e32 v3, v7
	s_or_b32 s0, s1, s0
	v_med3_i32 v44, v8, 0, 13
	v_cmp_ne_u32_e64 s1, 0, v31
	v_add_nc_u32_e32 v10, 0xfffffc10, v10
	v_cvt_f64_f32_e32 v[7:8], v3
	s_wait_alu 0xfffe
	v_add_co_ci_u32_e64 v3, s0, 0, v37, s0
	v_cmp_ne_u32_e64 s0, 0, v2
	s_wait_alu 0xf1ff
	v_cndmask_b32_e64 v31, 0, 1, s1
	v_cmp_ne_u32_e64 s1, 0, v17
	s_delay_alu instid0(VALU_DEP_3) | instskip(SKIP_1) | instid1(VALU_DEP_4)
	v_cndmask_b32_e64 v2, 0, 1, s0
	v_cmp_gt_i32_e64 s0, 31, v34
	v_lshl_or_b32 v31, v31, 9, 0x7c00
	s_delay_alu instid0(VALU_DEP_3) | instskip(SKIP_1) | instid1(VALU_DEP_3)
	v_lshl_or_b32 v2, v2, 9, 0x7c00
	s_wait_alu 0xf1ff
	v_cndmask_b32_e64 v3, 0x7c00, v3, s0
	v_cmp_gt_i32_e64 s0, 1, v32
	s_wait_alu 0xf1ff
	s_delay_alu instid0(VALU_DEP_1)
	v_cndmask_b32_e64 v35, v36, v35, s0
	s_wait_alu 0xfffd
	v_cndmask_b32_e64 v36, 0, 1, vcc_lo
	v_cmp_eq_u32_e32 vcc_lo, 0x40f, v34
	v_cmp_gt_i32_e64 s0, 1, v29
	v_or_b32_e32 v34, 0x1000, v4
	s_wait_alu 0xfffd
	v_cndmask_b32_e32 v37, v3, v2, vcc_lo
	v_or_b32_e32 v3, v41, v36
	v_lshl_or_b32 v36, v29, 12, v30
	v_and_b32_e32 v2, 7, v35
	v_lshrrev_b32_e32 v35, 2, v35
	v_and_or_b32 v16, 0x8000, v16, v37
	s_wait_alu 0xf1ff
	v_cndmask_b32_e64 v36, v36, v3, s0
	v_cmp_lt_i32_e32 vcc_lo, 5, v2
	v_cmp_eq_u32_e64 s0, 3, v2
	v_cvt_f64_f32_e32 v[2:3], v38
	v_and_or_b32 v38, 0x8000, v43, v40
	v_and_b32_e32 v40, 7, v36
	v_lshrrev_b32_e32 v36, 2, v36
	s_or_b32 vcc_lo, s0, vcc_lo
	v_mul_f64_e32 v[7:8], s[10:11], v[7:8]
	s_wait_alu 0xfffe
	v_add_co_ci_u32_e32 v35, vcc_lo, 0, v35, vcc_lo
	v_cmp_lt_i32_e32 vcc_lo, 5, v40
	v_cmp_eq_u32_e64 s0, 3, v40
	s_delay_alu instid0(VALU_DEP_1)
	s_or_b32 vcc_lo, s0, vcc_lo
	v_cmp_gt_i32_e64 s0, 1, v18
	s_wait_alu 0xfffe
	v_add_co_ci_u32_e32 v36, vcc_lo, 0, v36, vcc_lo
	v_cmp_ne_u32_e32 vcc_lo, 0, v30
	s_wait_alu 0xfffd
	v_cndmask_b32_e64 v30, 0, 1, vcc_lo
	v_cmp_gt_i32_e32 vcc_lo, 31, v32
	s_delay_alu instid0(VALU_DEP_2)
	v_lshl_or_b32 v30, v30, 9, 0x7c00
	s_wait_alu 0xfffd
	v_cndmask_b32_e32 v35, 0x7c00, v35, vcc_lo
	v_cmp_gt_i32_e32 vcc_lo, 31, v29
	s_wait_alu 0xfffd
	v_cndmask_b32_e32 v36, 0x7c00, v36, vcc_lo
	v_cmp_eq_u32_e32 vcc_lo, 0x40f, v32
	v_and_b32_e32 v32, 0xffff, v38
	v_mul_f64_e32 v[2:3], s[10:11], v[2:3]
	s_wait_alu 0xfffd
	v_cndmask_b32_e32 v31, v35, v31, vcc_lo
	v_cmp_eq_u32_e32 vcc_lo, 0x40f, v29
	v_lshl_or_b32 v16, v16, 16, v32
	v_and_or_b32 v7, 0x1ff, v8, v7
	v_lshrrev_b32_e32 v32, 8, v8
	v_and_or_b32 v20, 0x8000, v20, v31
	s_wait_alu 0xfffd
	v_cndmask_b32_e32 v29, v36, v30, vcc_lo
	v_fma_f16 v30, v45, v28, -v27
	v_add_co_u32 v27, vcc_lo, v23, s14
	v_and_b32_e32 v20, 0xffff, v20
	s_delay_alu instid0(VALU_DEP_4) | instskip(SKIP_3) | instid1(VALU_DEP_3)
	v_and_or_b32 v22, 0x8000, v22, v29
	s_wait_alu 0xfffd
	v_add_co_ci_u32_e32 v28, vcc_lo, s15, v24, vcc_lo
	v_lshrrev_b32_e32 v31, v44, v34
	v_lshl_or_b32 v20, v22, 16, v20
	global_store_b32 v[23:24], v16, off
	global_store_b32 v[27:28], v20, off
	s_clause 0x2
	scratch_load_b32 v36, off, off offset:44 th:TH_LOAD_LU
	scratch_load_b32 v37, off, off offset:40 th:TH_LOAD_LU
	;; [unrolled: 1-line block ×3, first 2 shown]
	v_cvt_f32_f16_e32 v22, v30
	v_lshrrev_b32_e32 v30, 16, v6
	v_add_co_u32 v27, vcc_lo, v27, s14
	s_wait_alu 0xfffd
	v_add_co_ci_u32_e32 v28, vcc_lo, s15, v28, vcc_lo
	v_cmp_ne_u32_e32 vcc_lo, 0, v7
	v_cvt_f64_f32_e32 v[22:23], v22
	v_add_nc_u32_e32 v24, 0xfffffc10, v26
	v_bfe_u32 v26, v8, 20, 11
	v_lshlrev_b32_e32 v29, v44, v31
	s_wait_alu 0xfffd
	v_cndmask_b32_e64 v7, 0, 1, vcc_lo
	v_cmp_ne_u32_e32 vcc_lo, v39, v33
	v_lshl_or_b32 v35, v24, 12, v17
	v_and_or_b32 v2, 0x1ff, v3, v2
	v_lshrrev_b32_e32 v8, 16, v8
	v_and_or_b32 v32, 0xffe, v32, v7
	s_wait_alu 0xfffd
	v_cndmask_b32_e64 v20, 0, 1, vcc_lo
	v_cmp_gt_i32_e32 vcc_lo, 1, v24
	s_delay_alu instid0(VALU_DEP_2) | instskip(SKIP_1) | instid1(VALU_DEP_1)
	v_or_b32_e32 v33, v21, v20
	s_wait_alu 0xfffd
	v_cndmask_b32_e32 v33, v35, v33, vcc_lo
	v_cmp_ne_u32_e32 vcc_lo, v25, v12
	s_delay_alu instid0(VALU_DEP_2) | instskip(SKIP_3) | instid1(VALU_DEP_2)
	v_and_b32_e32 v7, 7, v33
	s_wait_alu 0xfffd
	v_cndmask_b32_e64 v12, 0, 1, vcc_lo
	v_cmp_ne_u32_e32 vcc_lo, 0, v2
	v_or_b32_e32 v25, v11, v12
	s_wait_alu 0xfffd
	v_cndmask_b32_e64 v2, 0, 1, vcc_lo
	v_cmp_lt_i32_e32 vcc_lo, 5, v7
	v_mul_f64_e32 v[11:12], s[10:11], v[22:23]
	s_delay_alu instid0(VALU_DEP_1) | instskip(SKIP_3) | instid1(VALU_DEP_1)
	v_and_or_b32 v11, 0x1ff, v12, v11
	s_wait_loadcnt 0x2
	v_mul_f16_e32 v16, v36, v30
	s_wait_loadcnt 0x1
	v_fmac_f16_e32 v16, v37, v6
	v_mul_f16_e32 v6, v36, v6
	v_or_b32_e32 v36, 0x1000, v32
	s_delay_alu instid0(VALU_DEP_3) | instskip(NEXT) | instid1(VALU_DEP_3)
	v_cvt_f32_f16_e32 v16, v16
	v_fma_f16 v6, v37, v30, -v6
	v_lshl_or_b32 v30, v18, 12, v14
	s_delay_alu instid0(VALU_DEP_3) | instskip(SKIP_2) | instid1(VALU_DEP_3)
	v_cvt_f64_f32_e32 v[20:21], v16
	v_sub_nc_u32_e32 v16, 0x3f1, v26
	s_wait_alu 0xf1ff
	v_cndmask_b32_e64 v22, v30, v25, s0
	v_cmp_eq_u32_e64 s0, 3, v7
	v_cvt_f32_f16_e32 v6, v6
	v_bfe_u32 v25, v3, 20, 11
	v_med3_i32 v35, v16, 0, 13
	v_lshrrev_b32_e32 v16, 8, v3
	v_and_b32_e32 v23, 7, v22
	s_or_b32 vcc_lo, s0, vcc_lo
	v_cvt_f64_f32_e32 v[6:7], v6
	v_lshrrev_b32_e32 v22, 2, v22
	v_and_or_b32 v2, 0xffe, v16, v2
	v_lshrrev_b32_e32 v16, 2, v33
	v_cmp_eq_u32_e64 s0, 3, v23
	v_add_nc_u32_e32 v26, 0xfffffc10, v26
	v_lshrrev_b32_e32 v3, 16, v3
	s_wait_alu 0xfffe
	v_add_co_ci_u32_e32 v30, vcc_lo, 0, v16, vcc_lo
	v_cmp_lt_i32_e32 vcc_lo, 5, v23
	v_cndmask_b32_e64 v23, 0, 1, s1
	v_cmp_gt_i32_e64 s1, 1, v26
	s_or_b32 vcc_lo, s0, vcc_lo
	v_mul_f64_e32 v[16:17], s[10:11], v[20:21]
	s_wait_alu 0xfffe
	v_add_co_ci_u32_e32 v20, vcc_lo, 0, v22, vcc_lo
	v_cmp_ne_u32_e32 vcc_lo, 0, v14
	v_lshl_or_b32 v22, v23, 9, 0x7c00
	s_wait_alu 0xfffd
	v_cndmask_b32_e64 v14, 0, 1, vcc_lo
	v_cmp_gt_i32_e32 vcc_lo, 31, v24
	s_delay_alu instid0(VALU_DEP_2)
	v_lshl_or_b32 v14, v14, 9, 0x7c00
	s_wait_alu 0xfffd
	v_cndmask_b32_e32 v21, 0x7c00, v30, vcc_lo
	v_cmp_gt_i32_e32 vcc_lo, 31, v18
	s_wait_alu 0xfffd
	v_cndmask_b32_e32 v20, 0x7c00, v20, vcc_lo
	v_cmp_eq_u32_e32 vcc_lo, 0x40f, v24
	s_wait_alu 0xfffd
	v_cndmask_b32_e32 v21, v21, v22, vcc_lo
	v_cmp_eq_u32_e32 vcc_lo, 0x40f, v18
	v_sub_nc_u32_e32 v22, 0x3f1, v25
	s_delay_alu instid0(VALU_DEP_3)
	v_and_or_b32 v18, 0x8000, v19, v21
	s_wait_alu 0xfffd
	v_cndmask_b32_e32 v14, v20, v14, vcc_lo
	v_cmp_ne_u32_e32 vcc_lo, 0, v11
	v_med3_i32 v19, v22, 0, 13
	v_lshrrev_b32_e32 v22, v35, v36
	v_and_b32_e32 v18, 0xffff, v18
	v_and_or_b32 v21, 0x8000, v15, v14
	v_mul_f64_e32 v[14:15], s[10:11], v[6:7]
	s_wait_alu 0xfffd
	v_cndmask_b32_e64 v6, 0, 1, vcc_lo
	v_lshrrev_b32_e32 v7, 8, v12
	v_and_or_b32 v16, 0x1ff, v17, v16
	v_lshlrev_b32_e32 v30, v35, v22
	v_bfe_u32 v11, v12, 20, 11
	v_or_b32_e32 v20, 0x1000, v2
	v_and_or_b32 v24, 0xffe, v7, v6
	v_add_co_u32 v6, vcc_lo, v27, s14
	s_wait_alu 0xfffd
	v_add_co_ci_u32_e32 v7, vcc_lo, s15, v28, vcc_lo
	v_cmp_ne_u32_e32 vcc_lo, 0, v16
	v_lshl_or_b32 v18, v21, 16, v18
	v_sub_nc_u32_e32 v21, 0x3f1, v11
	v_lshrrev_b32_e32 v23, v19, v20
	v_lshrrev_b32_e32 v33, 8, v17
	s_wait_alu 0xfffd
	v_cndmask_b32_e64 v16, 0, 1, vcc_lo
	v_cmp_ne_u32_e32 vcc_lo, v29, v34
	scratch_load_b32 v34, off, off offset:32 th:TH_LOAD_LU ; 4-byte Folded Reload
	global_store_b32 v[27:28], v18, off
	v_med3_i32 v18, v21, 0, 13
	v_or_b32_e32 v21, 0x1000, v24
	s_wait_alu 0xfffd
	v_cndmask_b32_e64 v29, 0, 1, vcc_lo
	v_cmp_gt_i32_e32 vcc_lo, 1, v10
	v_lshlrev_b32_e32 v19, v19, v23
	v_lshrrev_b32_e32 v28, 16, v0
	v_lshrrev_b32_e32 v27, v18, v21
	v_or_b32_e32 v29, v31, v29
	v_lshl_or_b32 v31, v10, 12, v4
	v_bfe_u32 v35, v17, 20, 11
	s_wait_loadcnt 0x1
	v_mul_f16_e32 v37, v38, v28
	v_lshlrev_b32_e32 v18, v18, v27
	v_and_or_b32 v16, 0xffe, v33, v16
	s_wait_alu 0xfffd
	v_cndmask_b32_e32 v29, v31, v29, vcc_lo
	v_sub_nc_u32_e32 v33, 0x3f1, v35
	v_mul_f16_e32 v38, v38, v0
	v_lshrrev_b32_e32 v12, 16, v12
	v_and_or_b32 v14, 0x1ff, v15, v14
	v_and_b32_e32 v39, 7, v29
	v_lshrrev_b32_e32 v29, 2, v29
	v_lshrrev_b32_e32 v31, 8, v15
	;; [unrolled: 1-line block ×3, first 2 shown]
	v_cmp_ne_u32_e32 vcc_lo, 0, v14
	v_cmp_eq_u32_e64 s0, 3, v39
	s_wait_alu 0xfffd
	v_cndmask_b32_e64 v14, 0, 1, vcc_lo
	v_cmp_ne_u32_e32 vcc_lo, v30, v36
	s_delay_alu instid0(VALU_DEP_2) | instskip(SKIP_3) | instid1(VALU_DEP_3)
	v_and_or_b32 v31, 0xffe, v31, v14
	s_wait_alu 0xfffd
	v_cndmask_b32_e64 v30, 0, 1, vcc_lo
	v_cmp_lt_i32_e32 vcc_lo, 5, v39
	v_or_b32_e32 v36, 0x1000, v31
	s_delay_alu instid0(VALU_DEP_3) | instskip(SKIP_4) | instid1(VALU_DEP_2)
	v_or_b32_e32 v22, v22, v30
	v_lshl_or_b32 v30, v26, 12, v32
	s_or_b32 vcc_lo, s0, vcc_lo
	s_wait_alu 0xfffe
	v_add_co_ci_u32_e32 v29, vcc_lo, 0, v29, vcc_lo
	v_cndmask_b32_e64 v22, v30, v22, s1
	v_cmp_ne_u32_e32 vcc_lo, 0, v4
	v_cmp_eq_u32_e64 s1, 0x40f, v10
	s_delay_alu instid0(VALU_DEP_3)
	v_and_b32_e32 v30, 7, v22
	s_wait_alu 0xfffd
	v_cndmask_b32_e64 v4, 0, 1, vcc_lo
	v_cmp_gt_i32_e32 vcc_lo, 31, v10
	v_lshrrev_b32_e32 v22, 2, v22
	v_lshrrev_b32_e32 v10, 16, v13
	v_cmp_eq_u32_e64 s0, 3, v30
	v_lshl_or_b32 v4, v4, 9, 0x7c00
	s_wait_alu 0xfffd
	v_cndmask_b32_e32 v29, 0x7c00, v29, vcc_lo
	v_cmp_lt_i32_e32 vcc_lo, 5, v30
	s_wait_alu 0xf1ff
	s_delay_alu instid0(VALU_DEP_2)
	v_cndmask_b32_e64 v4, v29, v4, s1
	s_or_b32 vcc_lo, s0, vcc_lo
	s_wait_alu 0xfffe
	v_add_co_ci_u32_e32 v13, vcc_lo, 0, v22, vcc_lo
	v_cmp_ne_u32_e32 vcc_lo, 0, v32
	v_and_or_b32 v4, 0x8000, v10, v4
	s_wait_alu 0xfffd
	v_cndmask_b32_e64 v22, 0, 1, vcc_lo
	v_cmp_gt_i32_e32 vcc_lo, 31, v26
	s_delay_alu instid0(VALU_DEP_3) | instskip(NEXT) | instid1(VALU_DEP_3)
	v_and_b32_e32 v4, 0xffff, v4
	v_lshl_or_b32 v22, v22, 9, 0x7c00
	s_wait_alu 0xfffd
	v_cndmask_b32_e32 v13, 0x7c00, v13, vcc_lo
	v_cmp_ne_u32_e32 vcc_lo, v19, v20
	v_add_nc_u32_e32 v20, 0xfffffc10, v25
	s_wait_alu 0xfffd
	v_cndmask_b32_e64 v19, 0, 1, vcc_lo
	v_cmp_ne_u32_e32 vcc_lo, v18, v21
	v_add_nc_u32_e32 v21, 0xfffffc10, v11
	s_delay_alu instid0(VALU_DEP_3)
	v_or_b32_e32 v19, v23, v19
	s_wait_alu 0xfffd
	v_cndmask_b32_e64 v18, 0, 1, vcc_lo
	v_cmp_eq_u32_e32 vcc_lo, 0x40f, v26
	v_lshl_or_b32 v23, v21, 12, v24
	scratch_load_b32 v26, off, off offset:16 th:TH_LOAD_LU ; 4-byte Folded Reload
	v_or_b32_e32 v18, v27, v18
	s_wait_alu 0xfffd
	v_cndmask_b32_e32 v13, v13, v22, vcc_lo
	v_lshl_or_b32 v22, v20, 12, v2
	v_cmp_gt_i32_e32 vcc_lo, 1, v20
	scratch_load_b32 v27, off, off offset:20 th:TH_LOAD_LU ; 4-byte Folded Reload
	v_and_or_b32 v8, 0x8000, v8, v13
	s_wait_alu 0xfffd
	v_cndmask_b32_e32 v19, v22, v19, vcc_lo
	v_cmp_gt_i32_e32 vcc_lo, 1, v21
	s_delay_alu instid0(VALU_DEP_3) | instskip(SKIP_1) | instid1(VALU_DEP_3)
	v_lshl_or_b32 v4, v8, 16, v4
	s_wait_alu 0xfffd
	v_dual_cndmask_b32 v18, v23, v18 :: v_dual_and_b32 v13, 7, v19
	v_lshrrev_b32_e32 v8, 2, v19
	v_add_nc_u32_e32 v19, 0xfffffc10, v35
	global_store_b32 v[6:7], v4, off
	v_cmp_lt_i32_e32 vcc_lo, 5, v13
	v_cmp_eq_u32_e64 s0, 3, v13
	v_and_b32_e32 v22, 7, v18
	v_lshrrev_b32_e32 v18, 2, v18
	s_delay_alu instid0(VALU_DEP_3) | instskip(NEXT) | instid1(VALU_DEP_2)
	s_or_b32 vcc_lo, s0, vcc_lo
	v_cmp_lt_i32_e64 s1, 5, v22
	s_wait_alu 0xfffe
	v_add_co_ci_u32_e32 v8, vcc_lo, 0, v8, vcc_lo
	v_cmp_ne_u32_e32 vcc_lo, 0, v2
	v_cmp_eq_u32_e64 s2, 3, v22
	v_lshl_or_b32 v22, v19, 12, v16
	s_wait_alu 0xfffd
	v_cndmask_b32_e64 v2, 0, 1, vcc_lo
	v_cmp_gt_i32_e32 vcc_lo, 31, v20
	s_delay_alu instid0(VALU_DEP_2)
	v_lshl_or_b32 v2, v2, 9, 0x7c00
	s_wait_alu 0xfffd
	v_cndmask_b32_e32 v8, 0x7c00, v8, vcc_lo
	s_wait_loadcnt 0x2
	v_fmac_f16_e32 v37, v34, v0
	v_med3_i32 v0, v33, 0, 13
	v_or_b32_e32 v33, 0x1000, v16
	v_fma_f16 v28, v34, v28, -v38
	v_bfe_u32 v38, v15, 20, 11
	v_cvt_f32_f16_e32 v10, v37
	v_lshrrev_b32_e32 v15, 16, v15
	v_lshrrev_b32_e32 v34, v0, v33
	v_cvt_f32_f16_e32 v13, v28
	v_sub_nc_u32_e32 v14, 0x3f1, v38
	v_cvt_f64_f32_e32 v[10:11], v10
	s_delay_alu instid0(VALU_DEP_4) | instskip(NEXT) | instid1(VALU_DEP_3)
	v_lshlrev_b32_e32 v0, v0, v34
	v_med3_i32 v14, v14, 0, 13
	s_delay_alu instid0(VALU_DEP_2) | instskip(NEXT) | instid1(VALU_DEP_2)
	v_cmp_ne_u32_e32 vcc_lo, v0, v33
	v_lshrrev_b32_e32 v29, v14, v36
	s_wait_alu 0xfffd
	v_cndmask_b32_e64 v0, 0, 1, vcc_lo
	s_or_b32 vcc_lo, s2, s1
	s_delay_alu instid0(VALU_DEP_2)
	v_lshlrev_b32_e32 v23, v14, v29
	s_wait_alu 0xfffe
	v_add_co_ci_u32_e32 v18, vcc_lo, 0, v18, vcc_lo
	v_cmp_ne_u32_e32 vcc_lo, 0, v24
	v_or_b32_e32 v0, v34, v0
	v_cmp_ne_u32_e64 s0, v23, v36
	scratch_load_b32 v23, off, off offset:28 th:TH_LOAD_LU ; 4-byte Folded Reload
	v_cvt_f64_f32_e32 v[13:14], v13
	s_wait_alu 0xfffd
	v_cndmask_b32_e64 v24, 0, 1, vcc_lo
	v_cmp_gt_i32_e32 vcc_lo, 1, v19
	v_cmp_eq_u32_e64 s1, 0x40f, v19
	s_wait_alu 0xfffd
	v_cndmask_b32_e32 v0, v22, v0, vcc_lo
	v_lshl_or_b32 v22, v24, 9, 0x7c00
	scratch_load_b32 v24, off, off offset:24 th:TH_LOAD_LU ; 4-byte Folded Reload
	v_cmp_gt_i32_e32 vcc_lo, 31, v21
	s_wait_alu 0xfffd
	v_cndmask_b32_e32 v18, 0x7c00, v18, vcc_lo
	v_cmp_eq_u32_e32 vcc_lo, 0x40f, v20
	v_mul_f64_e32 v[10:11], s[10:11], v[10:11]
	v_add_nc_u32_e32 v20, 0xfffffc10, v38
	s_wait_alu 0xfffd
	v_cndmask_b32_e32 v2, v8, v2, vcc_lo
	v_and_b32_e32 v8, 7, v0
	v_cmp_eq_u32_e32 vcc_lo, 0x40f, v21
	v_lshrrev_b32_e32 v0, 2, v0
	s_delay_alu instid0(VALU_DEP_4)
	v_and_or_b32 v2, 0x8000, v3, v2
	s_wait_alu 0xf1ff
	v_cndmask_b32_e64 v3, 0, 1, s0
	s_wait_alu 0xfffd
	v_cndmask_b32_e32 v18, v18, v22, vcc_lo
	v_cmp_lt_i32_e32 vcc_lo, 5, v8
	v_cmp_eq_u32_e64 s0, 3, v8
	s_delay_alu instid0(VALU_DEP_3) | instskip(SKIP_1) | instid1(VALU_DEP_3)
	v_and_or_b32 v8, 0x8000, v12, v18
	v_or_b32_e32 v12, v29, v3
	s_or_b32 vcc_lo, s0, vcc_lo
	v_lshl_or_b32 v18, v20, 12, v31
	s_wait_alu 0xfffe
	v_add_co_ci_u32_e32 v0, vcc_lo, 0, v0, vcc_lo
	v_cmp_gt_i32_e32 vcc_lo, 1, v20
	v_mul_f64_e32 v[3:4], s[10:11], v[13:14]
	v_lshrrev_b32_e32 v14, 16, v5
	s_wait_alu 0xfffd
	v_cndmask_b32_e32 v18, v18, v12, vcc_lo
	v_cmp_ne_u32_e32 vcc_lo, 0, v16
	s_delay_alu instid0(VALU_DEP_2)
	v_and_b32_e32 v16, 7, v18
	s_wait_alu 0xfffd
	v_cndmask_b32_e64 v13, 0, 1, vcc_lo
	v_cmp_gt_i32_e32 vcc_lo, 31, v19
	v_and_b32_e32 v19, 0xffff, v2
	v_lshrrev_b32_e32 v2, 2, v18
	v_cmp_eq_u32_e64 s0, 3, v16
	v_and_or_b32 v10, 0x1ff, v11, v10
	s_wait_alu 0xfffd
	v_cndmask_b32_e32 v0, 0x7c00, v0, vcc_lo
	v_lshl_or_b32 v21, v13, 9, 0x7c00
	v_lshrrev_b32_e32 v13, 8, v11
	v_bfe_u32 v22, v11, 20, 11
	v_cmp_ne_u32_e32 vcc_lo, 0, v10
	v_lshl_or_b32 v19, v8, 16, v19
	v_cndmask_b32_e64 v0, v0, v21, s1
	v_lshrrev_b32_e32 v11, 16, v11
	s_wait_alu 0xfffd
	v_cndmask_b32_e64 v10, 0, 1, vcc_lo
	v_cmp_lt_i32_e32 vcc_lo, 5, v16
	v_sub_nc_u32_e32 v16, 0x3f1, v22
	v_and_or_b32 v0, 0x8000, v17, v0
	s_delay_alu instid0(VALU_DEP_4) | instskip(SKIP_1) | instid1(VALU_DEP_3)
	v_and_or_b32 v10, 0xffe, v13, v10
	s_or_b32 vcc_lo, s0, vcc_lo
	v_med3_i32 v16, v16, 0, 13
	s_wait_alu 0xfffe
	v_add_co_ci_u32_e32 v2, vcc_lo, 0, v2, vcc_lo
	v_cmp_ne_u32_e32 vcc_lo, 0, v31
	v_or_b32_e32 v18, 0x1000, v10
	v_and_b32_e32 v0, 0xffff, v0
	v_and_or_b32 v3, 0x1ff, v4, v3
	v_bfe_u32 v25, v4, 20, 11
	s_delay_alu instid0(VALU_DEP_4) | instskip(NEXT) | instid1(VALU_DEP_1)
	v_lshrrev_b32_e32 v21, v16, v18
	v_lshlrev_b32_e32 v16, v16, v21
	s_wait_loadcnt 0x1
	v_mul_f16_e32 v12, v23, v14
	s_wait_loadcnt 0x0
	s_delay_alu instid0(VALU_DEP_1)
	v_fmac_f16_e32 v12, v24, v5
	v_mul_f16_e32 v5, v23, v5
	s_wait_alu 0xfffd
	v_cndmask_b32_e64 v23, 0, 1, vcc_lo
	v_cmp_gt_i32_e32 vcc_lo, 31, v20
	v_cvt_f32_f16_e32 v12, v12
	v_fma_f16 v5, v24, v14, -v5
	v_lshrrev_b32_e32 v24, 8, v4
	s_wait_alu 0xfffd
	v_cndmask_b32_e32 v14, 0x7c00, v2, vcc_lo
	v_cmp_ne_u32_e32 vcc_lo, 0, v3
	v_cvt_f64_f32_e32 v[12:13], v12
	v_cvt_f32_f16_e32 v2, v5
	v_lshl_or_b32 v23, v23, 9, 0x7c00
	v_lshrrev_b32_e32 v4, 16, v4
	s_wait_alu 0xfffd
	v_cndmask_b32_e64 v5, 0, 1, vcc_lo
	v_cmp_ne_u32_e32 vcc_lo, v16, v18
	v_cvt_f64_f32_e32 v[2:3], v2
	v_add_nc_u32_e32 v18, 0xfffffc10, v22
	s_delay_alu instid0(VALU_DEP_4)
	v_and_or_b32 v22, 0xffe, v24, v5
	v_sub_nc_u32_e32 v5, 0x3f1, v25
	s_wait_alu 0xfffd
	v_cndmask_b32_e64 v16, 0, 1, vcc_lo
	v_cmp_eq_u32_e32 vcc_lo, 0x40f, v20
	v_cmp_eq_u32_e64 s1, 0x40f, v18
	v_or_b32_e32 v20, 0x1000, v22
	v_med3_i32 v5, v5, 0, 13
	v_or_b32_e32 v16, v21, v16
	s_wait_alu 0xfffd
	v_cndmask_b32_e32 v14, v14, v23, vcc_lo
	v_lshl_or_b32 v21, v18, 12, v10
	v_cmp_gt_i32_e32 vcc_lo, 1, v18
	v_lshrrev_b32_e32 v17, v5, v20
	v_lshrrev_b32_e32 v23, 16, v1
	s_wait_alu 0xfffd
	v_cndmask_b32_e32 v16, v21, v16, vcc_lo
	s_delay_alu instid0(VALU_DEP_3) | instskip(SKIP_2) | instid1(VALU_DEP_4)
	v_lshlrev_b32_e32 v8, v5, v17
	v_and_or_b32 v21, 0x8000, v15, v14
	v_add_co_u32 v5, vcc_lo, v6, s8
	v_and_b32_e32 v14, 7, v16
	s_delay_alu instid0(VALU_DEP_4)
	v_cmp_ne_u32_e64 s0, v8, v20
	s_wait_alu 0xfffd
	v_add_co_ci_u32_e32 v6, vcc_lo, s9, v7, vcc_lo
	v_add_nc_u32_e32 v20, 0xfffffc10, v25
	v_cmp_lt_i32_e32 vcc_lo, 5, v14
	s_wait_alu 0xf1ff
	v_cndmask_b32_e64 v7, 0, 1, s0
	v_cmp_eq_u32_e64 s0, 3, v14
	v_lshrrev_b32_e32 v14, 2, v16
	v_mul_f64_e32 v[12:13], s[10:11], v[12:13]
	v_mul_f16_e32 v15, v27, v23
	v_or_b32_e32 v16, v17, v7
	s_or_b32 vcc_lo, s0, vcc_lo
	v_lshl_or_b32 v17, v20, 12, v22
	v_lshl_or_b32 v0, v21, 16, v0
	v_mul_f64_e32 v[7:8], s[10:11], v[2:3]
	s_wait_alu 0xfffe
	v_add_co_ci_u32_e32 v3, vcc_lo, 0, v14, vcc_lo
	v_cmp_ne_u32_e32 vcc_lo, 0, v10
	v_fmac_f16_e32 v15, v26, v1
	v_mul_f16_e32 v1, v27, v1
	global_store_b32 v[5:6], v19, off
	s_wait_alu 0xfffd
	v_cndmask_b32_e64 v10, 0, 1, vcc_lo
	v_cmp_gt_i32_e32 vcc_lo, 1, v20
	v_cvt_f32_f16_e32 v2, v15
	v_fma_f16 v1, v26, v23, -v1
	scratch_load_b32 v26, off, off offset:12 th:TH_LOAD_LU ; 4-byte Folded Reload
	v_lshl_or_b32 v10, v10, 9, 0x7c00
	s_wait_alu 0xfffd
	v_cndmask_b32_e32 v16, v17, v16, vcc_lo
	v_cmp_gt_i32_e32 vcc_lo, 31, v18
	v_cvt_f64_f32_e32 v[14:15], v2
	v_cvt_f32_f16_e32 v1, v1
	s_delay_alu instid0(VALU_DEP_4)
	v_and_b32_e32 v21, 7, v16
	s_wait_alu 0xfffd
	v_cndmask_b32_e32 v17, 0x7c00, v3, vcc_lo
	v_add_co_u32 v2, vcc_lo, v5, s14
	s_wait_alu 0xfffd
	v_add_co_ci_u32_e32 v3, vcc_lo, s15, v6, vcc_lo
	v_cmp_lt_i32_e32 vcc_lo, 5, v21
	v_lshrrev_b32_e32 v16, 2, v16
	v_cndmask_b32_e64 v10, v17, v10, s1
	global_store_b32 v[2:3], v0, off
	v_and_or_b32 v12, 0x1ff, v13, v12
	v_lshrrev_b32_e32 v24, 8, v13
	v_bfe_u32 v25, v13, 20, 11
	v_lshrrev_b32_e32 v13, 16, v13
	s_delay_alu instid0(VALU_DEP_4) | instskip(SKIP_1) | instid1(VALU_DEP_4)
	v_cmp_ne_u32_e64 s0, 0, v12
	v_and_or_b32 v7, 0x1ff, v8, v7
	v_sub_nc_u32_e32 v17, 0x3f1, v25
	v_bfe_u32 v23, v8, 20, 11
	s_wait_alu 0xf1ff
	v_cndmask_b32_e64 v12, 0, 1, s0
	v_cmp_eq_u32_e64 s0, 3, v21
	v_med3_i32 v17, v17, 0, 13
	s_delay_alu instid0(VALU_DEP_3) | instskip(NEXT) | instid1(VALU_DEP_3)
	v_and_or_b32 v12, 0xffe, v24, v12
	s_or_b32 vcc_lo, s0, vcc_lo
	v_and_or_b32 v24, 0x8000, v11, v10
	s_wait_alu 0xfffe
	v_add_co_ci_u32_e32 v16, vcc_lo, 0, v16, vcc_lo
	v_cmp_ne_u32_e32 vcc_lo, 0, v22
	v_or_b32_e32 v21, 0x1000, v12
	v_mul_f64_e32 v[10:11], s[10:11], v[14:15]
	v_lshrrev_b32_e32 v14, 8, v8
	v_and_b32_e32 v24, 0xffff, v24
	s_wait_alu 0xfffd
	v_cndmask_b32_e64 v18, 0, 1, vcc_lo
	v_cmp_gt_i32_e32 vcc_lo, 31, v20
	v_lshrrev_b32_e32 v22, v17, v21
	v_lshrrev_b32_e32 v8, 16, v8
	s_delay_alu instid0(VALU_DEP_4)
	v_lshl_or_b32 v18, v18, 9, 0x7c00
	s_wait_alu 0xfffd
	v_cndmask_b32_e32 v16, 0x7c00, v16, vcc_lo
	v_cmp_ne_u32_e32 vcc_lo, 0, v7
	v_lshlrev_b32_e32 v17, v17, v22
	s_wait_alu 0xfffd
	v_cndmask_b32_e64 v7, 0, 1, vcc_lo
	v_cmp_eq_u32_e32 vcc_lo, 0x40f, v20
	s_wait_alu 0xfffd
	v_cndmask_b32_e32 v16, v16, v18, vcc_lo
	v_cmp_ne_u32_e32 vcc_lo, v17, v21
	v_add_nc_u32_e32 v17, 0xfffffc10, v25
	scratch_load_b32 v25, off, off offset:8 th:TH_LOAD_LU ; 4-byte Folded Reload
	v_and_or_b32 v18, 0xffe, v14, v7
	v_cvt_f64_f32_e32 v[14:15], v1
	s_wait_alu 0xfffd
	v_cndmask_b32_e64 v1, 0, 1, vcc_lo
	v_and_or_b32 v4, 0x8000, v4, v16
	v_sub_nc_u32_e32 v7, 0x3f1, v23
	v_or_b32_e32 v20, 0x1000, v18
	v_lshl_or_b32 v21, v17, 12, v12
	v_or_b32_e32 v1, v22, v1
	v_lshrrev_b32_e32 v22, 16, v9
	v_lshl_or_b32 v0, v4, 16, v24
	scratch_load_b32 v24, off, off th:TH_LOAD_LU ; 4-byte Folded Reload
	v_med3_i32 v7, v7, 0, 13
	v_cmp_gt_i32_e32 vcc_lo, 1, v17
	v_and_or_b32 v10, 0x1ff, v11, v10
	s_wait_alu 0xfffd
	v_cndmask_b32_e32 v1, v21, v1, vcc_lo
	v_lshrrev_b32_e32 v21, v7, v20
	s_delay_alu instid0(VALU_DEP_3) | instskip(NEXT) | instid1(VALU_DEP_3)
	v_cmp_ne_u32_e64 s1, 0, v10
	v_and_b32_e32 v6, 7, v1
	s_delay_alu instid0(VALU_DEP_3) | instskip(SKIP_1) | instid1(VALU_DEP_3)
	v_lshlrev_b32_e32 v5, v7, v21
	s_wait_alu 0xf1ff
	v_cndmask_b32_e64 v10, 0, 1, s1
	v_lshrrev_b32_e32 v1, 2, v1
	v_cmp_lt_i32_e32 vcc_lo, 5, v6
	v_cmp_ne_u32_e64 s0, v5, v20
	s_wait_alu 0xf1ff
	s_delay_alu instid0(VALU_DEP_1) | instskip(SKIP_1) | instid1(VALU_DEP_2)
	v_cndmask_b32_e64 v7, 0, 1, s0
	v_cmp_eq_u32_e64 s0, 3, v6
	v_or_b32_e32 v19, v21, v7
	v_mul_f64_e32 v[6:7], s[10:11], v[14:15]
	s_delay_alu instid0(VALU_DEP_3) | instskip(SKIP_4) | instid1(VALU_DEP_3)
	s_or_b32 vcc_lo, s0, vcc_lo
	v_lshrrev_b32_e32 v21, 8, v11
	s_wait_alu 0xfffe
	v_add_co_ci_u32_e32 v1, vcc_lo, 0, v1, vcc_lo
	v_cmp_ne_u32_e32 vcc_lo, 0, v12
	v_and_or_b32 v15, 0xffe, v21, v10
	s_wait_alu 0xfffd
	v_cndmask_b32_e64 v12, 0, 1, vcc_lo
	s_delay_alu instid0(VALU_DEP_1) | instskip(SKIP_4) | instid1(VALU_DEP_1)
	v_lshl_or_b32 v12, v12, 9, 0x7c00
	v_and_or_b32 v6, 0x1ff, v7, v6
	s_wait_loadcnt 0x2
	v_mul_f16_e32 v16, v26, v22
	s_wait_loadcnt 0x1
	v_fmac_f16_e32 v16, v25, v9
	v_mul_f16_e32 v9, v26, v9
	s_delay_alu instid0(VALU_DEP_2) | instskip(NEXT) | instid1(VALU_DEP_2)
	v_cvt_f32_f16_e32 v4, v16
	v_fma_f16 v9, v25, v22, -v9
	scratch_load_b32 v25, off, off offset:4 th:TH_LOAD_LU ; 4-byte Folded Reload
	v_add_nc_u32_e32 v16, 0xfffffc10, v23
	v_bfe_u32 v23, v11, 20, 11
	v_cvt_f64_f32_e32 v[4:5], v4
	v_cvt_f32_f16_e32 v9, v9
	s_delay_alu instid0(VALU_DEP_4) | instskip(SKIP_3) | instid1(VALU_DEP_2)
	v_lshl_or_b32 v20, v16, 12, v18
	v_cmp_gt_i32_e64 s1, 1, v16
	v_sub_nc_u32_e32 v10, 0x3f1, v23
	s_wait_alu 0xf1ff
	v_cndmask_b32_e64 v14, v20, v19, s1
	v_or_b32_e32 v20, 0x1000, v15
	s_delay_alu instid0(VALU_DEP_3) | instskip(SKIP_1) | instid1(VALU_DEP_4)
	v_med3_i32 v10, v10, 0, 13
	v_cmp_gt_i32_e64 s1, 31, v17
	v_and_b32_e32 v19, 7, v14
	v_lshrrev_b32_e32 v14, 2, v14
	s_wait_alu 0xf1ff
	s_delay_alu instid0(VALU_DEP_3) | instskip(NEXT) | instid1(VALU_DEP_3)
	v_cndmask_b32_e64 v1, 0x7c00, v1, s1
	v_cmp_lt_i32_e32 vcc_lo, 5, v19
	v_cmp_eq_u32_e64 s0, 3, v19
	v_lshrrev_b32_e32 v19, v10, v20
	s_delay_alu instid0(VALU_DEP_2) | instskip(NEXT) | instid1(VALU_DEP_1)
	s_or_b32 vcc_lo, s0, vcc_lo
	v_lshlrev_b32_e32 v10, v10, v19
	s_wait_alu 0xfffe
	v_add_co_ci_u32_e32 v14, vcc_lo, 0, v14, vcc_lo
	v_cmp_eq_u32_e32 vcc_lo, 0x40f, v17
	ds_load_b32 v17, v152 offset:9408
	s_wait_alu 0xfffd
	v_cndmask_b32_e32 v1, v1, v12, vcc_lo
	v_cmp_ne_u32_e32 vcc_lo, 0, v18
	v_add_nc_u32_e32 v18, 0xfffffc10, v23
	v_mul_f64_e32 v[4:5], s[10:11], v[4:5]
	s_delay_alu instid0(VALU_DEP_4) | instskip(SKIP_4) | instid1(VALU_DEP_3)
	v_and_or_b32 v1, 0x8000, v13, v1
	s_wait_alu 0xfffd
	v_cndmask_b32_e64 v12, 0, 1, vcc_lo
	v_cmp_ne_u32_e32 vcc_lo, v10, v20
	v_bfe_u32 v20, v7, 20, 11
	v_lshl_or_b32 v12, v12, 9, 0x7c00
	s_wait_alu 0xfffd
	v_cndmask_b32_e64 v10, 0, 1, vcc_lo
	v_cmp_gt_i32_e32 vcc_lo, 31, v16
	s_wait_dscnt 0x0
	v_lshrrev_b32_e32 v21, 16, v17
	s_delay_alu instid0(VALU_DEP_3)
	v_or_b32_e32 v10, v19, v10
	s_wait_alu 0xfffd
	v_cndmask_b32_e32 v14, 0x7c00, v14, vcc_lo
	v_lshl_or_b32 v19, v18, 12, v15
	v_cmp_gt_i32_e32 vcc_lo, 1, v18
	s_wait_alu 0xfffd
	s_delay_alu instid0(VALU_DEP_2)
	v_cndmask_b32_e32 v13, v19, v10, vcc_lo
	v_cmp_ne_u32_e32 vcc_lo, 0, v6
	v_lshrrev_b32_e32 v19, 8, v7
	v_cvt_f64_f32_e32 v[9:10], v9
	v_lshrrev_b32_e32 v7, 16, v7
	s_wait_alu 0xfffd
	v_cndmask_b32_e64 v6, 0, 1, vcc_lo
	v_cmp_eq_u32_e32 vcc_lo, 0x40f, v16
	v_sub_nc_u32_e32 v16, 0x3f1, v20
	v_add_nc_u32_e32 v20, 0xfffffc10, v20
	s_delay_alu instid0(VALU_DEP_4)
	v_and_or_b32 v6, 0xffe, v19, v6
	s_wait_alu 0xfffd
	v_cndmask_b32_e32 v12, v14, v12, vcc_lo
	v_and_b32_e32 v14, 7, v13
	v_med3_i32 v16, v16, 0, 13
	v_or_b32_e32 v22, 0x1000, v6
	s_delay_alu instid0(VALU_DEP_4) | instskip(NEXT) | instid1(VALU_DEP_4)
	v_and_or_b32 v23, 0x8000, v8, v12
	v_cmp_lt_i32_e32 vcc_lo, 5, v14
	v_cmp_eq_u32_e64 s0, 3, v14
	v_lshrrev_b32_e32 v8, 2, v13
	v_lshrrev_b32_e32 v14, v16, v22
	v_and_or_b32 v4, 0x1ff, v5, v4
	s_delay_alu instid0(VALU_DEP_4) | instskip(SKIP_2) | instid1(VALU_DEP_1)
	s_or_b32 vcc_lo, s0, vcc_lo
	s_wait_loadcnt 0x0
	v_mul_f16_e32 v19, v25, v21
	v_fmac_f16_e32 v19, v24, v17
	s_delay_alu instid0(VALU_DEP_1)
	v_cvt_f32_f16_e32 v12, v19
	s_wait_alu 0xfffe
	v_add_co_ci_u32_e32 v19, vcc_lo, 0, v8, vcc_lo
	v_cmp_ne_u32_e32 vcc_lo, 0, v15
	v_lshlrev_b32_e32 v8, v16, v14
	v_cvt_f64_f32_e32 v[12:13], v12
	v_mul_f16_e32 v16, v25, v17
	v_lshrrev_b32_e32 v15, 8, v5
	s_wait_alu 0xfffd
	v_cndmask_b32_e64 v17, 0, 1, vcc_lo
	v_cmp_ne_u32_e32 vcc_lo, 0, v4
	v_fma_f16 v16, v24, v21, -v16
	s_delay_alu instid0(VALU_DEP_3)
	v_lshl_or_b32 v17, v17, 9, 0x7c00
	s_wait_alu 0xfffd
	v_cndmask_b32_e64 v4, 0, 1, vcc_lo
	v_cmp_ne_u32_e32 vcc_lo, v8, v22
	v_bfe_u32 v22, v5, 20, 11
	v_mul_f64_e32 v[8:9], s[10:11], v[9:10]
	v_lshrrev_b32_e32 v5, 16, v5
	v_and_or_b32 v24, 0xffe, v15, v4
	s_wait_alu 0xfffd
	v_cndmask_b32_e64 v21, 0, 1, vcc_lo
	v_cvt_f32_f16_e32 v4, v16
	v_cmp_gt_i32_e32 vcc_lo, 31, v18
	v_sub_nc_u32_e32 v10, 0x3f1, v22
	v_or_b32_e32 v25, 0x1000, v24
	v_or_b32_e32 v16, v14, v21
	v_lshl_or_b32 v21, v20, 12, v6
	v_cvt_f64_f32_e32 v[14:15], v4
	s_wait_alu 0xfffd
	v_cndmask_b32_e32 v19, 0x7c00, v19, vcc_lo
	v_cmp_gt_i32_e32 vcc_lo, 1, v20
	v_med3_i32 v4, v10, 0, 13
	v_and_b32_e32 v10, 0xffff, v1
	s_wait_alu 0xfffd
	v_cndmask_b32_e32 v16, v21, v16, vcc_lo
	v_add_co_u32 v1, vcc_lo, v2, s14
	s_wait_alu 0xfffd
	v_add_co_ci_u32_e32 v2, vcc_lo, s15, v3, vcc_lo
	s_delay_alu instid0(VALU_DEP_3)
	v_and_b32_e32 v3, 7, v16
	v_cmp_eq_u32_e32 vcc_lo, 0x40f, v18
	v_lshrrev_b32_e32 v26, v4, v25
	v_lshl_or_b32 v23, v23, 16, v10
	v_lshrrev_b32_e32 v10, 2, v16
	v_cmp_eq_u32_e64 s0, 3, v3
	s_wait_alu 0xfffd
	v_cndmask_b32_e32 v17, v19, v17, vcc_lo
	v_cmp_lt_i32_e32 vcc_lo, 5, v3
	v_lshlrev_b32_e32 v21, v4, v26
	v_mul_f64_e32 v[3:4], s[10:11], v[12:13]
	v_lshrrev_b32_e32 v18, 16, v11
	v_add_nc_u32_e32 v16, 0xfffffc10, v22
	s_or_b32 vcc_lo, s0, vcc_lo
	v_cmp_ne_u32_e64 s1, v21, v25
	s_wait_alu 0xfffe
	v_add_co_ci_u32_e32 v10, vcc_lo, 0, v10, vcc_lo
	v_cmp_ne_u32_e32 vcc_lo, 0, v6
	v_lshl_or_b32 v21, v16, 12, v24
	s_wait_alu 0xf1ff
	v_cndmask_b32_e64 v11, 0, 1, s1
	v_and_or_b32 v8, 0x1ff, v9, v8
	v_and_or_b32 v17, 0x8000, v18, v17
	s_wait_alu 0xfffd
	v_cndmask_b32_e64 v6, 0, 1, vcc_lo
	v_cmp_gt_i32_e32 vcc_lo, 31, v20
	v_or_b32_e32 v19, v26, v11
	v_and_b32_e32 v17, 0xffff, v17
	s_delay_alu instid0(VALU_DEP_4)
	v_lshl_or_b32 v6, v6, 9, 0x7c00
	s_wait_alu 0xfffd
	v_cndmask_b32_e32 v22, 0x7c00, v10, vcc_lo
	v_add_co_u32 v12, vcc_lo, v1, s14
	s_wait_alu 0xfffd
	v_add_co_ci_u32_e32 v13, vcc_lo, s15, v2, vcc_lo
	v_cmp_gt_i32_e32 vcc_lo, 1, v16
	v_mul_f64_e32 v[10:11], s[10:11], v[14:15]
	v_lshrrev_b32_e32 v15, 8, v9
	s_wait_alu 0xfffd
	v_cndmask_b32_e32 v14, v21, v19, vcc_lo
	v_cmp_ne_u32_e32 vcc_lo, 0, v8
	v_bfe_u32 v19, v9, 20, 11
	v_lshrrev_b32_e32 v9, 16, v9
	s_wait_alu 0xfffd
	v_cndmask_b32_e64 v8, 0, 1, vcc_lo
	v_cmp_eq_u32_e32 vcc_lo, 0x40f, v20
	v_and_b32_e32 v20, 7, v14
	v_lshrrev_b32_e32 v14, 2, v14
	v_and_or_b32 v3, 0x1ff, v4, v3
	v_and_or_b32 v8, 0xffe, v15, v8
	s_wait_alu 0xfffd
	v_cndmask_b32_e32 v6, v22, v6, vcc_lo
	v_sub_nc_u32_e32 v15, 0x3f1, v19
	v_cmp_lt_i32_e32 vcc_lo, 5, v20
	v_cmp_eq_u32_e64 s0, 3, v20
	v_lshrrev_b32_e32 v20, 8, v4
	v_and_or_b32 v6, 0x8000, v7, v6
	v_or_b32_e32 v7, 0x1000, v8
	v_med3_i32 v15, v15, 0, 13
	s_or_b32 vcc_lo, s0, vcc_lo
	v_bfe_u32 v21, v4, 20, 11
	s_wait_alu 0xfffe
	v_add_co_ci_u32_e32 v14, vcc_lo, 0, v14, vcc_lo
	v_lshrrev_b32_e32 v18, v15, v7
	v_cmp_ne_u32_e32 vcc_lo, 0, v3
	v_lshrrev_b32_e32 v4, 16, v4
	s_delay_alu instid0(VALU_DEP_3) | instskip(SKIP_4) | instid1(VALU_DEP_3)
	v_lshlrev_b32_e32 v15, v15, v18
	s_wait_alu 0xfffd
	v_cndmask_b32_e64 v3, 0, 1, vcc_lo
	v_cmp_ne_u32_e32 vcc_lo, 0, v24
	v_and_or_b32 v10, 0x1ff, v11, v10
	v_and_or_b32 v3, 0xffe, v20, v3
	s_wait_alu 0xfffd
	v_cndmask_b32_e64 v22, 0, 1, vcc_lo
	v_cmp_ne_u32_e32 vcc_lo, v15, v7
	v_sub_nc_u32_e32 v20, 0x3f1, v21
	v_add_nc_u32_e32 v15, 0xfffffc10, v19
	v_or_b32_e32 v19, 0x1000, v3
	v_lshrrev_b32_e32 v24, 8, v11
	s_wait_alu 0xfffd
	v_cndmask_b32_e64 v7, 0, 1, vcc_lo
	v_cmp_gt_i32_e32 vcc_lo, 31, v16
	v_med3_i32 v20, v20, 0, 13
	v_bfe_u32 v25, v11, 20, 11
	s_delay_alu instid0(VALU_DEP_4)
	v_or_b32_e32 v7, v18, v7
	s_wait_alu 0xfffd
	v_cndmask_b32_e32 v14, 0x7c00, v14, vcc_lo
	v_cmp_ne_u32_e32 vcc_lo, 0, v10
	v_lshl_or_b32 v18, v15, 12, v8
	v_lshrrev_b32_e32 v26, v20, v19
	s_wait_alu 0xfffd
	v_cndmask_b32_e64 v10, 0, 1, vcc_lo
	v_cmp_gt_i32_e32 vcc_lo, 1, v15
	s_delay_alu instid0(VALU_DEP_3) | instskip(NEXT) | instid1(VALU_DEP_3)
	v_lshlrev_b32_e32 v20, v20, v26
	v_and_or_b32 v10, 0xffe, v24, v10
	v_sub_nc_u32_e32 v24, 0x3f1, v25
	s_wait_alu 0xfffd
	v_cndmask_b32_e32 v7, v18, v7, vcc_lo
	v_lshl_or_b32 v18, v22, 9, 0x7c00
	v_cmp_eq_u32_e32 vcc_lo, 0x40f, v16
	v_or_b32_e32 v22, 0x1000, v10
	v_med3_i32 v24, v24, 0, 13
	v_and_b32_e32 v27, 7, v7
	v_lshrrev_b32_e32 v7, 2, v7
	s_wait_alu 0xfffd
	v_cndmask_b32_e32 v14, v14, v18, vcc_lo
	v_cmp_ne_u32_e32 vcc_lo, v20, v19
	v_add_nc_u32_e32 v18, 0xfffffc10, v21
	v_lshrrev_b32_e32 v19, v24, v22
	v_cmp_eq_u32_e64 s0, 3, v27
	v_and_or_b32 v5, 0x8000, v5, v14
	s_wait_alu 0xfffd
	v_cndmask_b32_e64 v16, 0, 1, vcc_lo
	v_lshl_or_b32 v20, v18, 12, v3
	v_lshlrev_b32_e32 v21, v24, v19
	v_cmp_gt_i32_e64 s1, 1, v18
	v_cmp_lt_i32_e32 vcc_lo, 5, v27
	v_or_b32_e32 v16, v26, v16
	v_and_b32_e32 v5, 0xffff, v5
	s_or_b32 vcc_lo, s0, vcc_lo
	s_delay_alu instid0(VALU_DEP_2)
	v_cndmask_b32_e64 v16, v20, v16, s1
	v_cmp_ne_u32_e64 s1, v21, v22
	v_add_nc_u32_e32 v21, 0xfffffc10, v25
	s_wait_alu 0xfffe
	v_add_co_ci_u32_e32 v7, vcc_lo, 0, v7, vcc_lo
	v_and_b32_e32 v22, 7, v16
	s_wait_alu 0xf1ff
	v_cndmask_b32_e64 v20, 0, 1, s1
	v_cmp_ne_u32_e32 vcc_lo, 0, v8
	v_cmp_gt_i32_e64 s0, 1, v21
	v_lshrrev_b32_e32 v16, 2, v16
	v_cmp_gt_i32_e64 s1, 31, v15
	v_or_b32_e32 v19, v19, v20
	v_lshl_or_b32 v20, v21, 12, v10
	s_wait_alu 0xfffd
	v_cndmask_b32_e64 v8, 0, 1, vcc_lo
	v_cmp_lt_i32_e32 vcc_lo, 5, v22
	s_wait_alu 0xf1ff
	v_cndmask_b32_e64 v7, 0x7c00, v7, s1
	v_cmp_eq_u32_e64 s1, 0x40f, v15
	v_cndmask_b32_e64 v14, v20, v19, s0
	v_cmp_eq_u32_e64 s0, 3, v22
	v_lshl_or_b32 v8, v8, 9, 0x7c00
	s_delay_alu instid0(VALU_DEP_3) | instskip(NEXT) | instid1(VALU_DEP_3)
	v_and_b32_e32 v19, 7, v14
	s_or_b32 vcc_lo, s0, vcc_lo
	s_delay_alu instid0(VALU_DEP_2)
	v_cndmask_b32_e64 v7, v7, v8, s1
	s_wait_alu 0xfffe
	v_add_co_ci_u32_e32 v16, vcc_lo, 0, v16, vcc_lo
	v_cmp_ne_u32_e32 vcc_lo, 0, v3
	v_cmp_eq_u32_e64 s0, 3, v19
	v_lshrrev_b32_e32 v8, 2, v14
	v_cmp_gt_i32_e64 s1, 31, v18
	s_wait_alu 0xfffd
	v_cndmask_b32_e64 v3, 0, 1, vcc_lo
	v_cmp_lt_i32_e32 vcc_lo, 5, v19
	s_wait_alu 0xf1ff
	v_cndmask_b32_e64 v14, 0x7c00, v16, s1
	s_delay_alu instid0(VALU_DEP_3)
	v_lshl_or_b32 v3, v3, 9, 0x7c00
	s_or_b32 vcc_lo, s0, vcc_lo
	s_wait_alu 0xfffe
	v_add_co_ci_u32_e32 v8, vcc_lo, 0, v8, vcc_lo
	v_cmp_ne_u32_e32 vcc_lo, 0, v10
	s_wait_alu 0xfffd
	v_cndmask_b32_e64 v10, 0, 1, vcc_lo
	v_cmp_eq_u32_e32 vcc_lo, 0x40f, v18
	s_delay_alu instid0(VALU_DEP_2)
	v_lshl_or_b32 v10, v10, 9, 0x7c00
	s_wait_alu 0xfffd
	v_cndmask_b32_e32 v3, v14, v3, vcc_lo
	v_cmp_gt_i32_e32 vcc_lo, 31, v21
	v_lshl_or_b32 v14, v6, 16, v17
	v_and_or_b32 v6, 0x8000, v9, v7
	v_lshrrev_b32_e32 v9, 16, v11
	v_and_or_b32 v7, 0x8000, v4, v3
	s_wait_alu 0xfffd
	v_cndmask_b32_e32 v8, 0x7c00, v8, vcc_lo
	v_cmp_eq_u32_e32 vcc_lo, 0x40f, v21
	s_wait_alu 0xfffd
	s_delay_alu instid0(VALU_DEP_2)
	v_dual_cndmask_b32 v8, v8, v10 :: v_dual_and_b32 v7, 0xffff, v7
	v_add_co_u32 v3, vcc_lo, v12, s14
	s_wait_alu 0xfffd
	v_add_co_ci_u32_e32 v4, vcc_lo, s15, v13, vcc_lo
	v_lshl_or_b32 v10, v6, 16, v5
	v_and_or_b32 v8, 0x8000, v9, v8
	v_add_co_u32 v5, vcc_lo, v3, s14
	s_wait_alu 0xfffd
	v_add_co_ci_u32_e32 v6, vcc_lo, s15, v4, vcc_lo
	s_delay_alu instid0(VALU_DEP_3) | instskip(NEXT) | instid1(VALU_DEP_3)
	v_lshl_or_b32 v9, v8, 16, v7
	v_add_co_u32 v7, vcc_lo, v5, s14
	s_wait_alu 0xfffd
	s_delay_alu instid0(VALU_DEP_3)
	v_add_co_ci_u32_e32 v8, vcc_lo, s15, v6, vcc_lo
	global_store_b32 v[1:2], v0, off
	global_store_b32 v[12:13], v23, off
	;; [unrolled: 1-line block ×5, first 2 shown]
.LBB0_2:
	s_nop 0
	s_sendmsg sendmsg(MSG_DEALLOC_VGPRS)
	s_endpgm
	.section	.rodata,"a",@progbits
	.p2align	6, 0x0
	.amdhsa_kernel bluestein_single_fwd_len2401_dim1_half_op_CI_CI
		.amdhsa_group_segment_fixed_size 9604
		.amdhsa_private_segment_fixed_size 448
		.amdhsa_kernarg_size 104
		.amdhsa_user_sgpr_count 2
		.amdhsa_user_sgpr_dispatch_ptr 0
		.amdhsa_user_sgpr_queue_ptr 0
		.amdhsa_user_sgpr_kernarg_segment_ptr 1
		.amdhsa_user_sgpr_dispatch_id 0
		.amdhsa_user_sgpr_private_segment_size 0
		.amdhsa_wavefront_size32 1
		.amdhsa_uses_dynamic_stack 0
		.amdhsa_enable_private_segment 1
		.amdhsa_system_sgpr_workgroup_id_x 1
		.amdhsa_system_sgpr_workgroup_id_y 0
		.amdhsa_system_sgpr_workgroup_id_z 0
		.amdhsa_system_sgpr_workgroup_info 0
		.amdhsa_system_vgpr_workitem_id 0
		.amdhsa_next_free_vgpr 256
		.amdhsa_next_free_sgpr 20
		.amdhsa_reserve_vcc 1
		.amdhsa_float_round_mode_32 0
		.amdhsa_float_round_mode_16_64 0
		.amdhsa_float_denorm_mode_32 3
		.amdhsa_float_denorm_mode_16_64 3
		.amdhsa_fp16_overflow 0
		.amdhsa_workgroup_processor_mode 1
		.amdhsa_memory_ordered 1
		.amdhsa_forward_progress 0
		.amdhsa_round_robin_scheduling 0
		.amdhsa_exception_fp_ieee_invalid_op 0
		.amdhsa_exception_fp_denorm_src 0
		.amdhsa_exception_fp_ieee_div_zero 0
		.amdhsa_exception_fp_ieee_overflow 0
		.amdhsa_exception_fp_ieee_underflow 0
		.amdhsa_exception_fp_ieee_inexact 0
		.amdhsa_exception_int_div_zero 0
	.end_amdhsa_kernel
	.text
.Lfunc_end0:
	.size	bluestein_single_fwd_len2401_dim1_half_op_CI_CI, .Lfunc_end0-bluestein_single_fwd_len2401_dim1_half_op_CI_CI
                                        ; -- End function
	.section	.AMDGPU.csdata,"",@progbits
; Kernel info:
; codeLenInByte = 93020
; NumSgprs: 22
; NumVgprs: 256
; ScratchSize: 448
; MemoryBound: 0
; FloatMode: 240
; IeeeMode: 1
; LDSByteSize: 9604 bytes/workgroup (compile time only)
; SGPRBlocks: 2
; VGPRBlocks: 31
; NumSGPRsForWavesPerEU: 22
; NumVGPRsForWavesPerEU: 256
; Occupancy: 5
; WaveLimiterHint : 1
; COMPUTE_PGM_RSRC2:SCRATCH_EN: 1
; COMPUTE_PGM_RSRC2:USER_SGPR: 2
; COMPUTE_PGM_RSRC2:TRAP_HANDLER: 0
; COMPUTE_PGM_RSRC2:TGID_X_EN: 1
; COMPUTE_PGM_RSRC2:TGID_Y_EN: 0
; COMPUTE_PGM_RSRC2:TGID_Z_EN: 0
; COMPUTE_PGM_RSRC2:TIDIG_COMP_CNT: 0
	.text
	.p2alignl 7, 3214868480
	.fill 96, 4, 3214868480
	.type	__hip_cuid_ead639400440e35d,@object ; @__hip_cuid_ead639400440e35d
	.section	.bss,"aw",@nobits
	.globl	__hip_cuid_ead639400440e35d
__hip_cuid_ead639400440e35d:
	.byte	0                               ; 0x0
	.size	__hip_cuid_ead639400440e35d, 1

	.ident	"AMD clang version 19.0.0git (https://github.com/RadeonOpenCompute/llvm-project roc-6.4.0 25133 c7fe45cf4b819c5991fe208aaa96edf142730f1d)"
	.section	".note.GNU-stack","",@progbits
	.addrsig
	.addrsig_sym __hip_cuid_ead639400440e35d
	.amdgpu_metadata
---
amdhsa.kernels:
  - .args:
      - .actual_access:  read_only
        .address_space:  global
        .offset:         0
        .size:           8
        .value_kind:     global_buffer
      - .actual_access:  read_only
        .address_space:  global
        .offset:         8
        .size:           8
        .value_kind:     global_buffer
      - .actual_access:  read_only
        .address_space:  global
        .offset:         16
        .size:           8
        .value_kind:     global_buffer
      - .actual_access:  read_only
        .address_space:  global
        .offset:         24
        .size:           8
        .value_kind:     global_buffer
      - .actual_access:  read_only
        .address_space:  global
        .offset:         32
        .size:           8
        .value_kind:     global_buffer
      - .offset:         40
        .size:           8
        .value_kind:     by_value
      - .address_space:  global
        .offset:         48
        .size:           8
        .value_kind:     global_buffer
      - .address_space:  global
        .offset:         56
        .size:           8
        .value_kind:     global_buffer
      - .address_space:  global
        .offset:         64
        .size:           8
        .value_kind:     global_buffer
      - .address_space:  global
        .offset:         72
        .size:           8
        .value_kind:     global_buffer
      - .offset:         80
        .size:           4
        .value_kind:     by_value
      - .address_space:  global
        .offset:         88
        .size:           8
        .value_kind:     global_buffer
      - .address_space:  global
        .offset:         96
        .size:           8
        .value_kind:     global_buffer
    .group_segment_fixed_size: 9604
    .kernarg_segment_align: 8
    .kernarg_segment_size: 104
    .language:       OpenCL C
    .language_version:
      - 2
      - 0
    .max_flat_workgroup_size: 49
    .name:           bluestein_single_fwd_len2401_dim1_half_op_CI_CI
    .private_segment_fixed_size: 448
    .sgpr_count:     22
    .sgpr_spill_count: 0
    .symbol:         bluestein_single_fwd_len2401_dim1_half_op_CI_CI.kd
    .uniform_work_group_size: 1
    .uses_dynamic_stack: false
    .vgpr_count:     256
    .vgpr_spill_count: 111
    .wavefront_size: 32
    .workgroup_processor_mode: 1
amdhsa.target:   amdgcn-amd-amdhsa--gfx1201
amdhsa.version:
  - 1
  - 2
...

	.end_amdgpu_metadata
